;; amdgpu-corpus repo=ROCm/aiter kind=harvested arch=n/a opt=n/a

/root/src/amdgpu-assembly/repos/ROCm__aiter/hsa/gfx942/fmha_v3_fwd/MI300/fwd_hd192x128_bf16_rtne.co:	file format elf64-amdgpu

Disassembly of section .text:

0000000000003300 <_ZN5aiter28fmha_fwd_hd192x128_bf16_rtneE>:
	s_and_b32 s1, s1, 0xffff                                   // 000000003300: 8601FF01 0000FFFF
	s_load_dwordx2 s[20:21], s[0:1], 0x0                       // 000000003308: C0060500 00000000
	s_load_dwordx2 s[8:9], s[0:1], 0x10                        // 000000003310: C0060200 00000010
	s_load_dwordx2 s[12:13], s[0:1], 0x20                      // 000000003318: C0060300 00000020
	s_load_dwordx2 s[16:17], s[0:1], 0x30                      // 000000003320: C0060400 00000030
	s_load_dwordx2 s[24:25], s[0:1], 0x40                      // 000000003328: C0060600 00000040
	s_load_dword s28, s[0:1], 0x50                             // 000000003330: C0020700 00000050
	s_load_dword s30, s[0:1], 0x60                             // 000000003338: C0020780 00000060
	s_load_dword s62, s[0:1], 0x70                             // 000000003340: C0020F80 00000070
	s_load_dword s31, s[0:1], 0x80                             // 000000003348: C00207C0 00000080
	s_load_dword s32, s[0:1], 0x90                             // 000000003350: C0020800 00000090
	s_load_dword s33, s[0:1], 0xa0                             // 000000003358: C0020840 000000A0
	s_load_dword s46, s[0:1], 0xb0                             // 000000003360: C0020B80 000000B0
	s_load_dword s61, s[0:1], 0xc0                             // 000000003368: C0020F40 000000C0
	s_load_dword s47, s[0:1], 0xd0                             // 000000003370: C0020BC0 000000D0
	s_load_dword s48, s[0:1], 0xe0                             // 000000003378: C0020C00 000000E0
	s_load_dword s34, s[0:1], 0xf0                             // 000000003380: C0020880 000000F0
	s_load_dword s37, s[0:1], 0x100                            // 000000003388: C0020940 00000100
	s_load_dword s7, s[0:1], 0x110                             // 000000003390: C00201C0 00000110
	s_load_dword s96, s[0:1], 0x140                            // 000000003398: C0021800 00000140
	s_load_dword s80, s[0:1], 0x150                            // 0000000033A0: C0021400 00000150
	s_load_dword s81, s[0:1], 0x160                            // 0000000033A8: C0021440 00000160
	s_load_dword s82, s[0:1], 0x170                            // 0000000033B0: C0021480 00000170
	s_load_dword s83, s[0:1], 0x180                            // 0000000033B8: C00214C0 00000180
	s_load_dword s84, s[0:1], 0x190                            // 0000000033C0: C0021500 00000190
	s_load_dword s85, s[0:1], 0x1a0                            // 0000000033C8: C0021540 000001A0
	s_load_dwordx2 s[76:77], s[0:1], 0x1b0                     // 0000000033D0: C0061300 000001B0
	s_load_dwordx2 s[78:79], s[0:1], 0x1c0                     // 0000000033D8: C0061380 000001C0
	s_load_dword s86, s[0:1], 0x1d0                            // 0000000033E0: C0021580 000001D0
	s_load_dwordx2 s[88:89], s[0:1], 0x1e0                     // 0000000033E8: C0061600 000001E0
	s_load_dwordx2 s[90:91], s[0:1], 0x1f0                     // 0000000033F0: C0061680 000001F0
	v_lshrrev_b32_e32 v1, 10, v0                               // 0000000033F8: 2002008A
	v_lshrrev_b32_e32 v2, 10, v1                               // 0000000033FC: 2004028A
	v_and_b32_e32 v2, 0x3ff, v2                                // 000000003400: 260404FF 000003FF
	v_and_b32_e32 v1, 0x3ff, v1                                // 000000003408: 260202FF 000003FF
	v_and_b32_e32 v0, 0x3ff, v0                                // 000000003410: 260000FF 000003FF
	v_lshrrev_b32_e32 v3, 6, v0                                // 000000003418: 20060086
	v_and_b32_e32 v0, 63, v0                                   // 00000000341C: 260000BF
	s_mov_b32 s2, s2                                           // 000000003420: BE820002
	s_mov_b32 s3, s3                                           // 000000003424: BE830003
	s_mov_b32 s4, s4                                           // 000000003428: BE840004
	v_readfirstlane_b32 s5, v3                                 // 00000000342C: 7E0A0503
	s_waitcnt lgkmcnt(0)                                       // 000000003430: BF8CC07F
	s_mul_i32 s40, s30, s62                                    // 000000003434: 92283E1E
	s_mov_b32 s10, s40                                         // 000000003438: BE8A0028
	s_mul_i32 s40, s30, s83                                    // 00000000343C: 9228531E
	s_mov_b32 s22, s40                                         // 000000003440: BE960028
	s_mul_i32 s40, s7, s61                                     // 000000003444: 92283D07
	s_mov_b32 s14, s40                                         // 000000003448: BE8E0028
	s_mul_i32 s40, s7, s80                                     // 00000000344C: 92285007
	s_mov_b32 s18, s40                                         // 000000003450: BE920028
	s_mul_i32 s40, s30, 4                                      // 000000003454: 9228841E
	s_mov_b32 s26, s40                                         // 000000003458: BE9A0028
	s_mov_b32 s23, 0x20000                                     // 00000000345C: BE9700FF 00020000
	s_mov_b32 s11, 0x20000                                     // 000000003464: BE8B00FF 00020000
	s_mov_b32 s15, 0x20000                                     // 00000000346C: BE8F00FF 00020000
	s_mov_b32 s19, 0x20000                                     // 000000003474: BE9300FF 00020000
	s_mov_b32 s27, 0x20000                                     // 00000000347C: BE9B00FF 00020000
	s_and_b32 s21, s21, 0xffff                                 // 000000003484: 8615FF15 0000FFFF
	s_and_b32 s9, s9, 0xffff                                   // 00000000348C: 8609FF09 0000FFFF
	s_and_b32 s13, s13, 0xffff                                 // 000000003494: 860DFF0D 0000FFFF
	s_and_b32 s17, s17, 0xffff                                 // 00000000349C: 8611FF11 0000FFFF
	s_and_b32 s25, s25, 0xffff                                 // 0000000034A4: 8619FF19 0000FFFF
	s_nop 0                                                    // 0000000034AC: BF800000
	s_nop 0                                                    // 0000000034B0: BF800000
	s_mov_b32 s64, s2                                          // 0000000034B4: BEC00002
	s_mov_b32 s65, s46                                         // 0000000034B8: BEC1002E
	v_cvt_f32_u32_e32 v40, s65                                 // 0000000034BC: 7E500C41
	s_sub_i32 s40, 0, s65                                      // 0000000034C0: 81A84180
	v_rcp_iflag_f32_e32 v40, v40                               // 0000000034C4: 7E504728
	s_nop 0                                                    // 0000000034C8: BF800000
	v_mul_f32_e32 v40, 0x4f7ffffe, v40                         // 0000000034CC: 0A5050FF 4F7FFFFE
	v_cvt_u32_f32_e32 v40, v40                                 // 0000000034D4: 7E500F28
	v_mul_lo_u32 v41, s40, v40                                 // 0000000034D8: D2850029 00025028
	v_mul_hi_u32 v41, v40, v41                                 // 0000000034E0: D2860029 00025328
	v_add_u32_e32 v40, v40, v41                                // 0000000034E8: 68505328
	v_mul_hi_u32 v40, s64, v40                                 // 0000000034EC: D2860028 00025040
	v_mul_lo_u32 v41, v40, s65                                 // 0000000034F4: D2850029 00008328
	v_sub_u32_e32 v43, s64, v41                                // 0000000034FC: 6A565240
	v_add_u32_e32 v42, 1, v40                                  // 000000003500: 68545081
	v_cmp_le_u32_e32 vcc, s65, v43                             // 000000003504: 7D965641
	v_subrev_u32_e32 v41, s65, v43                             // 000000003508: 6C525641
	s_nop 0                                                    // 00000000350C: BF800000
	v_cndmask_b32_e32 v40, v40, v42, vcc                       // 000000003510: 00505528
	v_cndmask_b32_e32 v43, v43, v41, vcc                       // 000000003514: 0056532B
	v_add_u32_e32 v41, 1, v40                                  // 000000003518: 68525081
	v_cmp_le_u32_e32 vcc, s65, v43                             // 00000000351C: 7D965641
	s_nop 1                                                    // 000000003520: BF800001
	v_cndmask_b32_e32 v43, v40, v41, vcc                       // 000000003524: 00565328
	s_nop 3                                                    // 000000003528: BF800003
	v_readfirstlane_b32 s66, v43                               // 00000000352C: 7E84052B
	s_nop 3                                                    // 000000003530: BF800003
	s_mov_b32 s49, 0x7060302                                   // 000000003534: BEB100FF 07060302
	s_mov_b32 s50, 0x5040100                                   // 00000000353C: BEB200FF 05040100
	v_mov_b32_e32 v65, 0xffff0000                              // 000000003544: 7E8202FF FFFF0000
	v_mov_b32_e32 v66, 0x7fff0000                              // 00000000354C: 7E8402FF 7FFF0000
	v_mov_b32_e32 v67, 0x7fff                                  // 000000003554: 7E8602FF 00007FFF
	v_lshrrev_b32_e32 v40, 5, v0                               // 00000000355C: 20500085
	v_sub_u32_e32 v40, 1, v40                                  // 000000003560: 6A505081
	v_mul_i32_i24_e32 v56, 0x80, v40                           // 000000003564: 0C7050FF 00000080
	v_and_b32_e32 v40, 31, v0                                  // 00000000356C: 2650009F
	v_mul_i32_i24_e32 v40, 4, v40                              // 000000003570: 0C505084
	v_add_u32_e32 v56, v40, v56                                // 000000003574: 68707128
	s_mov_b32 s60, 0                                           // 000000003578: BEBC0080
	s_mov_b32 s35, 0                                           // 00000000357C: BEA30080
	s_mul_i32 s43, 32, s61                                     // 000000003580: 922B3DA0
	s_mul_i32 s44, 32, s80                                     // 000000003584: 922C50A0
	s_mul_i32 s40, s4, s33                                     // 000000003588: 92282104
	s_mul_hi_u32 s42, s4, s33                                  // 00000000358C: 962A2104
	s_and_b32 s42, s42, 0xffff                                 // 000000003590: 862AFF2A 0000FFFF
	s_mul_i32 s41, s2, s32                                     // 000000003598: 92292002
	s_add_u32 s40, s40, s41                                    // 00000000359C: 80282928
	s_add_u32 s8, s40, s8                                      // 0000000035A0: 80080828
	s_addc_u32 s9, s42, s9                                     // 0000000035A4: 8209092A
	s_mul_i32 s40, s4, s85                                     // 0000000035A8: 92285504
	s_mul_hi_u32 s42, s4, s85                                  // 0000000035AC: 962A5504
	s_and_b32 s42, s42, 0xffff                                 // 0000000035B0: 862AFF2A 0000FFFF
	s_mul_i32 s41, s2, s84                                     // 0000000035B8: 92295402
	s_add_u32 s40, s40, s41                                    // 0000000035BC: 80282928
	s_add_u32 s20, s40, s20                                    // 0000000035C0: 80141428
	s_addc_u32 s21, s42, s21                                   // 0000000035C4: 8215152A
	s_mul_i32 s40, s96, s86                                    // 0000000035C8: 92285660
	s_mul_i32 s40, s4, s40                                     // 0000000035CC: 92282804
	s_mul_i32 s41, s2, s86                                     // 0000000035D0: 92295602
	s_nop 0                                                    // 0000000035D4: BF800000
	s_add_i32 s40, s40, s41                                    // 0000000035D8: 81282928
	s_add_u32 s24, s40, s24                                    // 0000000035DC: 80181828
	s_addc_u32 s25, 0, s25                                     // 0000000035E0: 82191980
	s_mul_i32 s40, s4, s48                                     // 0000000035E4: 92283004
	s_mul_hi_u32 s42, s4, s48                                  // 0000000035E8: 962A3004
	s_and_b32 s42, s42, 0xffff                                 // 0000000035EC: 862AFF2A 0000FFFF
	s_mul_i32 s41, s66, s47                                    // 0000000035F4: 92292F42
	s_add_u32 s40, s40, s41                                    // 0000000035F8: 80282928
	s_add_u32 s12, s40, s12                                    // 0000000035FC: 800C0C28
	s_addc_u32 s13, s42, s13                                   // 000000003600: 820D0D2A
	s_mul_i32 s40, s4, s82                                     // 000000003604: 92285204
	s_mul_hi_u32 s42, s4, s82                                  // 000000003608: 962A5204
	s_and_b32 s42, s42, 0xffff                                 // 00000000360C: 862AFF2A 0000FFFF
	s_mul_i32 s41, s66, s81                                    // 000000003614: 92295142
	s_add_u32 s40, s40, s41                                    // 000000003618: 80282928
	s_add_u32 s16, s40, s16                                    // 00000000361C: 80101028
	s_addc_u32 s17, s42, s17                                   // 000000003620: 8211112A
	s_mov_b32 s52, 0                                           // 000000003624: BEB40080
	s_mov_b32 s53, 32                                          // 000000003628: BEB500A0
	s_mov_b32 s36, 0                                           // 00000000362C: BEA40080
	s_mov_b32 s29, 0x3fb8aa3b                                  // 000000003630: BE9D00FF 3FB8AA3B
	v_mov_b32_e32 v55, 0xff800000                              // 000000003638: 7E6E02FF FF800000
	s_mov_b32 s59, 0                                           // 000000003640: BEBB0080
	s_lshr_b32 s54, s7, 5                                      // 000000003644: 8F368507
	s_lshl_b32 s54, s54, 5                                     // 000000003648: 8E368536
	v_lshrrev_b32_e32 v40, 5, v0                               // 00000000364C: 20500085
	v_mul_i32_i24_e32 v54, 4, v40                              // 000000003650: 0C6C5084
	s_mov_b32 s38, s7                                          // 000000003654: BEA60007
	s_mov_b32 s39, 0                                           // 000000003658: BEA70080
	v_mov_b32_e32 v41, s29                                     // 00000000365C: 7E52021D
	v_mov_b32_e32 v40, s28                                     // 000000003660: 7E50021C
	v_mul_f32_e32 v40, s29, v40                                // 000000003664: 0A50501D
	v_rcp_f32_e32 v41, v41                                     // 000000003668: 7E524529
	v_mov_b32_e32 v46, 0                                       // 00000000366C: 7E5C0280
	v_mov_b32_e32 v52, 0xff7fffff                              // 000000003670: 7E6802FF FF7FFFFF
	v_mov_b32_e32 v44, 0                                       // 000000003678: 7E580280
	v_mov_b32_e32 v46, 0                                       // 00000000367C: 7E5C0280
	v_readfirstlane_b32 s56, v40                               // 000000003680: 7E700528
	v_readfirstlane_b32 s45, v41                               // 000000003684: 7E5A0529
	v_rcp_f32_e32 v40, v40                                     // 000000003688: 7E504528
	s_nop 1                                                    // 00000000368C: BF800001
	v_mul_f32_e32 v40, v52, v40                                // 000000003690: 0A505134
	v_max_f32_e32 v52, v52, v40                                // 000000003694: 16685134
	s_mul_i32 s63, s3, s31                                     // 000000003698: 923F1F03
	v_lshrrev_b32_e32 v40, 5, v0                               // 00000000369C: 20500085
	v_lshlrev_b32_e32 v40, 4, v40                              // 0000000036A0: 24505084
	v_mul_i32_i24_e64 v40, v40, s62                            // 0000000036A4: D1060028 00007D28
	v_and_b32_e32 v4, 31, v0                                   // 0000000036AC: 2608009F
	v_lshlrev_b32_e32 v4, 2, v4                                // 0000000036B0: 24080882
	v_add_u32_e32 v4, v40, v4                                  // 0000000036B4: 68080928
	s_mul_i32 s41, s5, s62                                     // 0000000036B8: 92293E05
	v_add_u32_e32 v4, s41, v4                                  // 0000000036BC: 68080829
	s_mul_i32 s40, 4, s62                                      // 0000000036C0: 92283E84
	v_add_u32_e32 v5, s40, v4                                  // 0000000036C4: 680A0828
	v_add_u32_e32 v6, s40, v5                                  // 0000000036C8: 680C0A28
	v_add_u32_e32 v7, s40, v6                                  // 0000000036CC: 680E0C28
	v_add_u32_e32 v8, 0x80, v4                                 // 0000000036D0: 681008FF 00000080
	v_add_u32_e32 v9, 0x80, v5                                 // 0000000036D8: 68120AFF 00000080
	v_add_u32_e32 v10, 0x80, v6                                // 0000000036E0: 68140CFF 00000080
	v_add_u32_e32 v11, 0x80, v7                                // 0000000036E8: 68160EFF 00000080
	v_add_u32_e32 v12, 0x80, v8                                // 0000000036F0: 681810FF 00000080
	v_add_u32_e32 v13, 0x80, v9                                // 0000000036F8: 681A12FF 00000080
	v_add_u32_e32 v14, 0x80, v10                               // 000000003700: 681C14FF 00000080
	v_add_u32_e32 v15, 0x80, v11                               // 000000003708: 681E16FF 00000080
	v_add_u32_e32 v4, s63, v4                                  // 000000003710: 6808083F
	v_add_u32_e32 v5, s63, v5                                  // 000000003714: 680A0A3F
	v_add_u32_e32 v6, s63, v6                                  // 000000003718: 680C0C3F
	v_add_u32_e32 v7, s63, v7                                  // 00000000371C: 680E0E3F
	v_add_u32_e32 v8, s63, v8                                  // 000000003720: 6810103F
	v_add_u32_e32 v9, s63, v9                                  // 000000003724: 6812123F
	v_add_u32_e32 v10, s63, v10                                // 000000003728: 6814143F
	v_add_u32_e32 v11, s63, v11                                // 00000000372C: 6816163F
	v_add_u32_e32 v12, s63, v12                                // 000000003730: 6818183F
	v_add_u32_e32 v13, s63, v13                                // 000000003734: 681A1A3F
	v_add_u32_e32 v14, s63, v14                                // 000000003738: 681C1C3F
	v_add_u32_e32 v15, s63, v15                                // 00000000373C: 681E1E3F
	s_mul_i32 s40, s5, 0x110                                   // 000000003740: 9228FF05 00000110
	s_add_u32 s55, 0, s40                                      // 000000003748: 80372880
	s_mov_b32 s57, s56                                         // 00000000374C: BEB90038
	s_mov_b32 s40, 0                                           // 000000003750: BEA80080
	s_add_u32 s58, s40, s55                                    // 000000003754: 803A3728
	s_mul_i32 s59, 0, s62                                      // 000000003758: 923B3E80
	s_mov_b32 m0, s58                                          // 00000000375C: BEFC003A
	buffer_load_dword v4, s[8:11], s59 offen lds               // 000000003760: E0511000 3B020004
	s_add_u32 m0, 0x440, m0                                    // 000000003768: 807C7CFF 00000440
	buffer_load_dword v5, s[8:11], s59 offen lds               // 000000003770: E0511000 3B020005
	s_add_u32 m0, 0x440, m0                                    // 000000003778: 807C7CFF 00000440
	buffer_load_dword v6, s[8:11], s59 offen lds               // 000000003780: E0511000 3B020006
	s_add_u32 m0, 0x440, m0                                    // 000000003788: 807C7CFF 00000440
	buffer_load_dword v7, s[8:11], s59 offen lds               // 000000003790: E0511000 3B020007
	s_add_u32 m0, 0x440, m0                                    // 000000003798: 807C7CFF 00000440
	buffer_load_dword v8, s[8:11], s59 offen lds               // 0000000037A0: E0511000 3B020008
	s_add_u32 m0, 0x440, m0                                    // 0000000037A8: 807C7CFF 00000440
	buffer_load_dword v9, s[8:11], s59 offen lds               // 0000000037B0: E0511000 3B020009
	s_add_u32 m0, 0x440, m0                                    // 0000000037B8: 807C7CFF 00000440
	buffer_load_dword v10, s[8:11], s59 offen lds              // 0000000037C0: E0511000 3B02000A
	s_add_u32 m0, 0x440, m0                                    // 0000000037C8: 807C7CFF 00000440
	buffer_load_dword v11, s[8:11], s59 offen lds              // 0000000037D0: E0511000 3B02000B
	s_add_u32 m0, 0x440, m0                                    // 0000000037D8: 807C7CFF 00000440
	buffer_load_dword v12, s[8:11], s59 offen lds              // 0000000037E0: E0511000 3B02000C
	s_add_u32 m0, 0x440, m0                                    // 0000000037E8: 807C7CFF 00000440
	buffer_load_dword v13, s[8:11], s59 offen lds              // 0000000037F0: E0511000 3B02000D
	s_add_u32 m0, 0x440, m0                                    // 0000000037F8: 807C7CFF 00000440
	buffer_load_dword v14, s[8:11], s59 offen lds              // 000000003800: E0511000 3B02000E
	s_add_u32 m0, 0x440, m0                                    // 000000003808: 807C7CFF 00000440
	buffer_load_dword v15, s[8:11], s59 offen lds              // 000000003810: E0511000 3B02000F
	s_mov_b32 s40, 0x3300                                      // 000000003818: BEA800FF 00003300
	s_add_u32 s58, s40, s55                                    // 000000003820: 803A3728
	s_mul_i32 s59, 32, s62                                     // 000000003824: 923B3EA0
	s_nop 0                                                    // 000000003828: BF800000
	s_mov_b32 m0, s58                                          // 00000000382C: BEFC003A
	buffer_load_dword v4, s[8:11], s59 offen lds               // 000000003830: E0511000 3B020004
	s_add_u32 m0, 0x440, m0                                    // 000000003838: 807C7CFF 00000440
	buffer_load_dword v5, s[8:11], s59 offen lds               // 000000003840: E0511000 3B020005
	s_add_u32 m0, 0x440, m0                                    // 000000003848: 807C7CFF 00000440
	buffer_load_dword v6, s[8:11], s59 offen lds               // 000000003850: E0511000 3B020006
	s_add_u32 m0, 0x440, m0                                    // 000000003858: 807C7CFF 00000440
	buffer_load_dword v7, s[8:11], s59 offen lds               // 000000003860: E0511000 3B020007
	s_add_u32 m0, 0x440, m0                                    // 000000003868: 807C7CFF 00000440
	buffer_load_dword v8, s[8:11], s59 offen lds               // 000000003870: E0511000 3B020008
	s_add_u32 m0, 0x440, m0                                    // 000000003878: 807C7CFF 00000440
	buffer_load_dword v9, s[8:11], s59 offen lds               // 000000003880: E0511000 3B020009
	s_add_u32 m0, 0x440, m0                                    // 000000003888: 807C7CFF 00000440
	buffer_load_dword v10, s[8:11], s59 offen lds              // 000000003890: E0511000 3B02000A
	s_add_u32 m0, 0x440, m0                                    // 000000003898: 807C7CFF 00000440
	buffer_load_dword v11, s[8:11], s59 offen lds              // 0000000038A0: E0511000 3B02000B
	s_add_u32 m0, 0x440, m0                                    // 0000000038A8: 807C7CFF 00000440
	buffer_load_dword v12, s[8:11], s59 offen lds              // 0000000038B0: E0511000 3B02000C
	s_add_u32 m0, 0x440, m0                                    // 0000000038B8: 807C7CFF 00000440
	buffer_load_dword v13, s[8:11], s59 offen lds              // 0000000038C0: E0511000 3B02000D
	s_add_u32 m0, 0x440, m0                                    // 0000000038C8: 807C7CFF 00000440
	buffer_load_dword v14, s[8:11], s59 offen lds              // 0000000038D0: E0511000 3B02000E
	s_add_u32 m0, 0x440, m0                                    // 0000000038D8: 807C7CFF 00000440
	buffer_load_dword v15, s[8:11], s59 offen lds              // 0000000038E0: E0511000 3B02000F
	s_mov_b32 s40, 0x6600                                      // 0000000038E8: BEA800FF 00006600
	s_add_u32 s58, s40, s55                                    // 0000000038F0: 803A3728
	s_mul_i32 s59, 64, s62                                     // 0000000038F4: 923B3EC0
	s_nop 0                                                    // 0000000038F8: BF800000
	s_mov_b32 m0, s58                                          // 0000000038FC: BEFC003A
	buffer_load_dword v4, s[8:11], s59 offen lds               // 000000003900: E0511000 3B020004
	s_add_u32 m0, 0x440, m0                                    // 000000003908: 807C7CFF 00000440
	buffer_load_dword v5, s[8:11], s59 offen lds               // 000000003910: E0511000 3B020005
	s_add_u32 m0, 0x440, m0                                    // 000000003918: 807C7CFF 00000440
	buffer_load_dword v6, s[8:11], s59 offen lds               // 000000003920: E0511000 3B020006
	s_add_u32 m0, 0x440, m0                                    // 000000003928: 807C7CFF 00000440
	buffer_load_dword v7, s[8:11], s59 offen lds               // 000000003930: E0511000 3B020007
	s_add_u32 m0, 0x440, m0                                    // 000000003938: 807C7CFF 00000440
	buffer_load_dword v8, s[8:11], s59 offen lds               // 000000003940: E0511000 3B020008
	s_add_u32 m0, 0x440, m0                                    // 000000003948: 807C7CFF 00000440
	buffer_load_dword v9, s[8:11], s59 offen lds               // 000000003950: E0511000 3B020009
	s_add_u32 m0, 0x440, m0                                    // 000000003958: 807C7CFF 00000440
	buffer_load_dword v10, s[8:11], s59 offen lds              // 000000003960: E0511000 3B02000A
	s_add_u32 m0, 0x440, m0                                    // 000000003968: 807C7CFF 00000440
	buffer_load_dword v11, s[8:11], s59 offen lds              // 000000003970: E0511000 3B02000B
	s_add_u32 m0, 0x440, m0                                    // 000000003978: 807C7CFF 00000440
	buffer_load_dword v12, s[8:11], s59 offen lds              // 000000003980: E0511000 3B02000C
	s_add_u32 m0, 0x440, m0                                    // 000000003988: 807C7CFF 00000440
	buffer_load_dword v13, s[8:11], s59 offen lds              // 000000003990: E0511000 3B02000D
	s_add_u32 m0, 0x440, m0                                    // 000000003998: 807C7CFF 00000440
	buffer_load_dword v14, s[8:11], s59 offen lds              // 0000000039A0: E0511000 3B02000E
	s_add_u32 m0, 0x440, m0                                    // 0000000039A8: 807C7CFF 00000440
	buffer_load_dword v15, s[8:11], s59 offen lds              // 0000000039B0: E0511000 3B02000F
	s_mov_b32 s40, 0x9900                                      // 0000000039B8: BEA800FF 00009900
	s_add_u32 s58, s40, s55                                    // 0000000039C0: 803A3728
	s_mul_i32 s59, 0x60, s62                                   // 0000000039C4: 923B3EFF 00000060
	s_mov_b32 m0, s58                                          // 0000000039CC: BEFC003A
	buffer_load_dword v4, s[8:11], s59 offen lds               // 0000000039D0: E0511000 3B020004
	s_add_u32 m0, 0x440, m0                                    // 0000000039D8: 807C7CFF 00000440
	buffer_load_dword v5, s[8:11], s59 offen lds               // 0000000039E0: E0511000 3B020005
	s_add_u32 m0, 0x440, m0                                    // 0000000039E8: 807C7CFF 00000440
	buffer_load_dword v6, s[8:11], s59 offen lds               // 0000000039F0: E0511000 3B020006
	s_add_u32 m0, 0x440, m0                                    // 0000000039F8: 807C7CFF 00000440
	buffer_load_dword v7, s[8:11], s59 offen lds               // 000000003A00: E0511000 3B020007
	s_add_u32 m0, 0x440, m0                                    // 000000003A08: 807C7CFF 00000440
	buffer_load_dword v8, s[8:11], s59 offen lds               // 000000003A10: E0511000 3B020008
	s_add_u32 m0, 0x440, m0                                    // 000000003A18: 807C7CFF 00000440
	buffer_load_dword v9, s[8:11], s59 offen lds               // 000000003A20: E0511000 3B020009
	s_add_u32 m0, 0x440, m0                                    // 000000003A28: 807C7CFF 00000440
	buffer_load_dword v10, s[8:11], s59 offen lds              // 000000003A30: E0511000 3B02000A
	s_add_u32 m0, 0x440, m0                                    // 000000003A38: 807C7CFF 00000440
	buffer_load_dword v11, s[8:11], s59 offen lds              // 000000003A40: E0511000 3B02000B
	s_add_u32 m0, 0x440, m0                                    // 000000003A48: 807C7CFF 00000440
	buffer_load_dword v12, s[8:11], s59 offen lds              // 000000003A50: E0511000 3B02000C
	s_add_u32 m0, 0x440, m0                                    // 000000003A58: 807C7CFF 00000440
	buffer_load_dword v13, s[8:11], s59 offen lds              // 000000003A60: E0511000 3B02000D
	s_add_u32 m0, 0x440, m0                                    // 000000003A68: 807C7CFF 00000440
	buffer_load_dword v14, s[8:11], s59 offen lds              // 000000003A70: E0511000 3B02000E
	s_add_u32 m0, 0x440, m0                                    // 000000003A78: 807C7CFF 00000440
	buffer_load_dword v15, s[8:11], s59 offen lds              // 000000003A80: E0511000 3B02000F
	v_mov_b32_e32 v100, 0                                      // 000000003A88: 7EC80280
	v_mov_b32_e32 v101, 0                                      // 000000003A8C: 7ECA0280
	v_mov_b32_e32 v102, 0                                      // 000000003A90: 7ECC0280
	v_mov_b32_e32 v103, 0                                      // 000000003A94: 7ECE0280
	v_mov_b32_e32 v104, 0                                      // 000000003A98: 7ED00280
	v_mov_b32_e32 v105, 0                                      // 000000003A9C: 7ED20280
	v_mov_b32_e32 v106, 0                                      // 000000003AA0: 7ED40280
	v_mov_b32_e32 v107, 0                                      // 000000003AA4: 7ED60280
	v_mov_b32_e32 v108, 0                                      // 000000003AA8: 7ED80280
	v_mov_b32_e32 v109, 0                                      // 000000003AAC: 7EDA0280
	v_mov_b32_e32 v110, 0                                      // 000000003AB0: 7EDC0280
	v_mov_b32_e32 v111, 0                                      // 000000003AB4: 7EDE0280
	v_mov_b32_e32 v112, 0                                      // 000000003AB8: 7EE00280
	v_mov_b32_e32 v113, 0                                      // 000000003ABC: 7EE20280
	v_mov_b32_e32 v114, 0                                      // 000000003AC0: 7EE40280
	v_mov_b32_e32 v115, 0                                      // 000000003AC4: 7EE60280
	v_mov_b32_e32 v116, 0                                      // 000000003AC8: 7EE80280
	v_mov_b32_e32 v117, 0                                      // 000000003ACC: 7EEA0280
	v_mov_b32_e32 v118, 0                                      // 000000003AD0: 7EEC0280
	v_mov_b32_e32 v119, 0                                      // 000000003AD4: 7EEE0280
	v_mov_b32_e32 v120, 0                                      // 000000003AD8: 7EF00280
	v_mov_b32_e32 v121, 0                                      // 000000003ADC: 7EF20280
	v_mov_b32_e32 v122, 0                                      // 000000003AE0: 7EF40280
	v_mov_b32_e32 v123, 0                                      // 000000003AE4: 7EF60280
	v_mov_b32_e32 v124, 0                                      // 000000003AE8: 7EF80280
	v_mov_b32_e32 v125, 0                                      // 000000003AEC: 7EFA0280
	v_mov_b32_e32 v126, 0                                      // 000000003AF0: 7EFC0280
	v_mov_b32_e32 v127, 0                                      // 000000003AF4: 7EFE0280
	v_mov_b32_e32 v128, 0                                      // 000000003AF8: 7F000280
	v_mov_b32_e32 v129, 0                                      // 000000003AFC: 7F020280
	v_mov_b32_e32 v130, 0                                      // 000000003B00: 7F040280
	v_mov_b32_e32 v131, 0                                      // 000000003B04: 7F060280
	v_mov_b32_e32 v132, 0                                      // 000000003B08: 7F080280
	v_mov_b32_e32 v133, 0                                      // 000000003B0C: 7F0A0280
	v_mov_b32_e32 v134, 0                                      // 000000003B10: 7F0C0280
	v_mov_b32_e32 v135, 0                                      // 000000003B14: 7F0E0280
	v_mov_b32_e32 v136, 0                                      // 000000003B18: 7F100280
	v_mov_b32_e32 v137, 0                                      // 000000003B1C: 7F120280
	v_mov_b32_e32 v138, 0                                      // 000000003B20: 7F140280
	v_mov_b32_e32 v139, 0                                      // 000000003B24: 7F160280
	v_mov_b32_e32 v140, 0                                      // 000000003B28: 7F180280
	v_mov_b32_e32 v141, 0                                      // 000000003B2C: 7F1A0280
	v_mov_b32_e32 v142, 0                                      // 000000003B30: 7F1C0280
	v_mov_b32_e32 v143, 0                                      // 000000003B34: 7F1E0280
	v_mov_b32_e32 v144, 0                                      // 000000003B38: 7F200280
	v_mov_b32_e32 v145, 0                                      // 000000003B3C: 7F220280
	v_mov_b32_e32 v146, 0                                      // 000000003B40: 7F240280
	v_mov_b32_e32 v147, 0                                      // 000000003B44: 7F260280
	v_mov_b32_e32 v148, 0                                      // 000000003B48: 7F280280
	v_mov_b32_e32 v149, 0                                      // 000000003B4C: 7F2A0280
	v_mov_b32_e32 v150, 0                                      // 000000003B50: 7F2C0280
	v_mov_b32_e32 v151, 0                                      // 000000003B54: 7F2E0280
	v_mov_b32_e32 v152, 0                                      // 000000003B58: 7F300280
	v_mov_b32_e32 v153, 0                                      // 000000003B5C: 7F320280
	v_mov_b32_e32 v154, 0                                      // 000000003B60: 7F340280
	v_mov_b32_e32 v155, 0                                      // 000000003B64: 7F360280
	v_mov_b32_e32 v156, 0                                      // 000000003B68: 7F380280
	v_mov_b32_e32 v157, 0                                      // 000000003B6C: 7F3A0280
	v_mov_b32_e32 v158, 0                                      // 000000003B70: 7F3C0280
	v_mov_b32_e32 v159, 0                                      // 000000003B74: 7F3E0280
	v_mov_b32_e32 v160, 0                                      // 000000003B78: 7F400280
	v_mov_b32_e32 v161, 0                                      // 000000003B7C: 7F420280
	v_mov_b32_e32 v162, 0                                      // 000000003B80: 7F440280
	v_mov_b32_e32 v163, 0                                      // 000000003B84: 7F460280
	s_cmp_le_u32 s7, 0                                         // 000000003B88: BF0B8007
	s_cbranch_scc1 label_0FF8                                  // 000000003B8C: BF850DD4
	v_lshrrev_b32_e32 v40, 5, v0                               // 000000003B90: 20500085
	v_mul_i32_i24_e32 v41, 4, v40                              // 000000003B94: 0C525084
	v_and_b32_e32 v40, 31, v0                                  // 000000003B98: 2650009F
	v_lshrrev_b32_e32 v42, 4, v40                              // 000000003B9C: 20545084
	v_mul_i32_i24_e32 v42, 32, v42                             // 000000003BA0: 0C5454A0
	v_and_b32_e32 v43, 15, v40                                 // 000000003BA4: 2656508F
	v_mul_i32_i24_e32 v2, 0x44, v43                            // 000000003BA8: 0C0456FF 00000044
	v_add_u32_e32 v2, v2, v42                                  // 000000003BB0: 68045502
	v_add_u32_e32 v2, v2, v41                                  // 000000003BB4: 68045302
	v_lshlrev_b32_e32 v2, 2, v2                                // 000000003BB8: 24040482
	s_and_b32 s40, 3, s5                                       // 000000003BBC: 86280583
	s_mul_i32 s40, s40, 0x3300                                 // 000000003BC0: 9228FF28 00003300
	v_add_u32_e32 v2, s40, v2                                  // 000000003BC8: 68040428
	v_lshrrev_b32_e32 v40, 5, v0                               // 000000003BCC: 20500085
	v_mul_i32_i24_e32 v41, 4, v40                              // 000000003BD0: 0C525084
	v_and_b32_e32 v40, 31, v0                                  // 000000003BD4: 2650009F
	v_lshrrev_b32_e32 v42, 4, v40                              // 000000003BD8: 20545084
	v_mul_i32_i24_e32 v42, 32, v42                             // 000000003BDC: 0C5454A0
	v_and_b32_e32 v43, 15, v40                                 // 000000003BE0: 2656508F
	v_mul_i32_i24_e32 v36, 0x44, v43                           // 000000003BE4: 0C4856FF 00000044
	v_add_u32_e32 v36, v36, v42                                // 000000003BEC: 68485524
	v_add_u32_e32 v36, v36, v41                                // 000000003BF0: 68485324
	v_lshlrev_b32_e32 v36, 2, v36                              // 000000003BF4: 24484882
	v_lshrrev_b32_e32 v40, 5, v0                               // 000000003BF8: 20500085
	v_mul_i32_i24_e32 v41, 0x100, v40                          // 000000003BFC: 0C5250FF 00000100
	v_and_b32_e32 v40, 30, v0                                  // 000000003C04: 2650009E
	v_lshlrev_b32_e32 v40, 1, v40                              // 000000003C08: 24505081
	v_add_u32_e32 v37, v41, v40                                // 000000003C0C: 684A5129
	v_and_b32_e32 v40, 1, v0                                   // 000000003C10: 26500081
	v_mul_i32_i24_e32 v40, 0x410, v40                          // 000000003C14: 0C5050FF 00000410
	v_add_u32_e32 v37, v40, v37                                // 000000003C1C: 684A4B28
	v_lshlrev_b32_e32 v37, 2, v37                              // 000000003C20: 244A4A82
	v_lshlrev_b32_e32 v38, 2, v0                               // 000000003C24: 244C0082
	s_mul_i32 s40, s5, 0x100                                   // 000000003C28: 9228FF05 00000100
	v_add_u32_e32 v38, s40, v38                                // 000000003C30: 684C4C28
	v_lshlrev_b32_e32 v38, 2, v38                              // 000000003C34: 244C4C82
	v_lshrrev_b32_e32 v40, 5, v0                               // 000000003C38: 20500085
	v_lshlrev_b32_e32 v40, 4, v40                              // 000000003C3C: 24505084
	v_mul_i32_i24_e64 v40, v40, s61                            // 000000003C40: D1060028 00007B28
	v_and_b32_e32 v16, 31, v0                                  // 000000003C48: 2620009F
	v_lshlrev_b32_e32 v16, 2, v16                              // 000000003C4C: 24202082
	v_add_u32_e32 v16, v40, v16                                // 000000003C50: 68202128
	s_mul_i32 s41, s5, s61                                     // 000000003C54: 92293D05
	v_add_u32_e32 v16, s41, v16                                // 000000003C58: 68202029
	s_mul_i32 s40, 4, s61                                      // 000000003C5C: 92283D84
	v_add_u32_e32 v17, s40, v16                                // 000000003C60: 68222028
	v_add_u32_e32 v18, s40, v17                                // 000000003C64: 68242228
	v_add_u32_e32 v19, s40, v18                                // 000000003C68: 68262428
	v_add_u32_e32 v20, 0x80, v16                               // 000000003C6C: 682820FF 00000080
	v_add_u32_e32 v21, 0x80, v17                               // 000000003C74: 682A22FF 00000080
	v_add_u32_e32 v22, 0x80, v18                               // 000000003C7C: 682C24FF 00000080
	v_add_u32_e32 v23, 0x80, v19                               // 000000003C84: 682E26FF 00000080
	v_add_u32_e32 v24, 0x80, v20                               // 000000003C8C: 683028FF 00000080
	v_add_u32_e32 v25, 0x80, v21                               // 000000003C94: 68322AFF 00000080
	v_add_u32_e32 v26, 0x80, v22                               // 000000003C9C: 68342CFF 00000080
	v_add_u32_e32 v27, 0x80, v23                               // 000000003CA4: 68362EFF 00000080
	s_mul_i32 s40, s5, 0x110                                   // 000000003CAC: 9228FF05 00000110
	s_add_u32 s68, 0, s40                                      // 000000003CB4: 80442880
	s_add_u32 s69, 0x3300, s68                                 // 000000003CB8: 804544FF 00003300
	v_lshlrev_b32_e32 v28, 2, v0                               // 000000003CC0: 24380082
	s_and_b32 s40, 1, s5                                       // 000000003CC4: 86280581
	s_lshl_b32 s40, s40, 2                                     // 000000003CC8: 8E288228
	s_lshr_b32 s41, s5, 1                                      // 000000003CCC: 8F298105
	s_lshl_b32 s41, s41, 4                                     // 000000003CD0: 8E298429
	s_add_i32 s40, s40, s41                                    // 000000003CD4: 81282928
	s_mul_i32 s40, s40, s80                                    // 000000003CD8: 92285028
	v_add_u32_e32 v28, s40, v28                                // 000000003CDC: 68383828
	v_add_u32_e32 v29, s80, v28                                // 000000003CE0: 683A3850
	v_add_u32_e32 v30, s80, v29                                // 000000003CE4: 683C3A50
	v_add_u32_e32 v31, s80, v30                                // 000000003CE8: 683E3C50
	s_mul_i32 s40, s80, 8                                      // 000000003CEC: 92288850
	v_add_u32_e32 v32, s40, v28                                // 000000003CF0: 68403828
	v_add_u32_e32 v33, s40, v29                                // 000000003CF4: 68423A28
	v_add_u32_e32 v34, s40, v30                                // 000000003CF8: 68443C28
	v_add_u32_e32 v35, s40, v31                                // 000000003CFC: 68463E28
	s_waitcnt vmcnt(24)                                        // 000000003D00: BF8C4F78
	s_barrier                                                  // 000000003D04: BF8A0000
	s_cmp_lt_i32 s5, 2                                         // 000000003D08: BF048205
	s_cbranch_scc0 label_029C                                  // 000000003D0C: BF840018
	ds_read_b128 a[0:3], v2                                    // 000000003D10: DBFE0000 00000002
	ds_read_b128 a[4:7], v2 offset:32                          // 000000003D18: DBFE0020 04000002
	ds_read_b128 a[8:11], v2 offset:64                         // 000000003D20: DBFE0040 08000002
	ds_read_b128 a[12:15], v2 offset:96                        // 000000003D28: DBFE0060 0C000002
	ds_read_b128 a[16:19], v2 offset:4352                      // 000000003D30: DBFE1100 10000002
	ds_read_b128 a[20:23], v2 offset:4384                      // 000000003D38: DBFE1120 14000002
	ds_read_b128 a[24:27], v2 offset:4416                      // 000000003D40: DBFE1140 18000002
	ds_read_b128 a[28:31], v2 offset:4448                      // 000000003D48: DBFE1160 1C000002
	ds_read_b128 a[32:35], v2 offset:8704                      // 000000003D50: DBFE2200 20000002
	ds_read_b128 a[36:39], v2 offset:8736                      // 000000003D58: DBFE2220 24000002
	ds_read_b128 a[40:43], v2 offset:8768                      // 000000003D60: DBFE2240 28000002
	ds_read_b128 a[44:47], v2 offset:8800                      // 000000003D68: DBFE2260 2C000002

0000000000003d70 <label_029C>:
	s_waitcnt lgkmcnt(0)                                       // 000000003D70: BF8CC07F
	s_barrier                                                  // 000000003D74: BF8A0000
	s_nop 0                                                    // 000000003D78: BF800000
	s_mov_b32 m0, s68                                          // 000000003D7C: BEFC0044
	buffer_load_dword v16, s[12:15], s60 offen lds             // 000000003D80: E0511000 3C030010
	s_add_u32 m0, 0x440, m0                                    // 000000003D88: 807C7CFF 00000440
	buffer_load_dword v17, s[12:15], s60 offen lds             // 000000003D90: E0511000 3C030011
	s_add_u32 m0, 0x440, m0                                    // 000000003D98: 807C7CFF 00000440
	buffer_load_dword v18, s[12:15], s60 offen lds             // 000000003DA0: E0511000 3C030012
	s_add_u32 m0, 0x440, m0                                    // 000000003DA8: 807C7CFF 00000440
	buffer_load_dword v19, s[12:15], s60 offen lds             // 000000003DB0: E0511000 3C030013
	s_add_u32 m0, 0x440, m0                                    // 000000003DB8: 807C7CFF 00000440
	buffer_load_dword v20, s[12:15], s60 offen lds             // 000000003DC0: E0511000 3C030014
	s_add_u32 m0, 0x440, m0                                    // 000000003DC8: 807C7CFF 00000440
	buffer_load_dword v21, s[12:15], s60 offen lds             // 000000003DD0: E0511000 3C030015
	s_add_u32 m0, 0x440, m0                                    // 000000003DD8: 807C7CFF 00000440
	buffer_load_dword v22, s[12:15], s60 offen lds             // 000000003DE0: E0511000 3C030016
	s_add_u32 m0, 0x440, m0                                    // 000000003DE8: 807C7CFF 00000440
	buffer_load_dword v23, s[12:15], s60 offen lds             // 000000003DF0: E0511000 3C030017
	s_add_u32 m0, 0x440, m0                                    // 000000003DF8: 807C7CFF 00000440
	buffer_load_dword v24, s[12:15], s60 offen lds             // 000000003E00: E0511000 3C030018
	s_add_u32 m0, 0x440, m0                                    // 000000003E08: 807C7CFF 00000440
	buffer_load_dword v25, s[12:15], s60 offen lds             // 000000003E10: E0511000 3C030019
	s_add_u32 m0, 0x440, m0                                    // 000000003E18: 807C7CFF 00000440
	buffer_load_dword v26, s[12:15], s60 offen lds             // 000000003E20: E0511000 3C03001A
	s_add_u32 m0, 0x440, m0                                    // 000000003E28: 807C7CFF 00000440
	buffer_load_dword v27, s[12:15], s60 offen lds             // 000000003E30: E0511000 3C03001B
	s_add_i32 s60, s43, s60                                    // 000000003E38: 813C3C2B
	s_mov_b32 m0, s69                                          // 000000003E3C: BEFC0045
	buffer_load_dword v16, s[12:15], s60 offen lds             // 000000003E40: E0511000 3C030010
	s_add_u32 m0, 0x440, m0                                    // 000000003E48: 807C7CFF 00000440
	buffer_load_dword v17, s[12:15], s60 offen lds             // 000000003E50: E0511000 3C030011
	s_add_u32 m0, 0x440, m0                                    // 000000003E58: 807C7CFF 00000440
	buffer_load_dword v18, s[12:15], s60 offen lds             // 000000003E60: E0511000 3C030012
	s_add_u32 m0, 0x440, m0                                    // 000000003E68: 807C7CFF 00000440
	buffer_load_dword v19, s[12:15], s60 offen lds             // 000000003E70: E0511000 3C030013
	s_add_u32 m0, 0x440, m0                                    // 000000003E78: 807C7CFF 00000440
	buffer_load_dword v20, s[12:15], s60 offen lds             // 000000003E80: E0511000 3C030014
	s_add_u32 m0, 0x440, m0                                    // 000000003E88: 807C7CFF 00000440
	buffer_load_dword v21, s[12:15], s60 offen lds             // 000000003E90: E0511000 3C030015
	s_add_u32 m0, 0x440, m0                                    // 000000003E98: 807C7CFF 00000440
	buffer_load_dword v22, s[12:15], s60 offen lds             // 000000003EA0: E0511000 3C030016
	s_add_u32 m0, 0x440, m0                                    // 000000003EA8: 807C7CFF 00000440
	buffer_load_dword v23, s[12:15], s60 offen lds             // 000000003EB0: E0511000 3C030017
	s_add_u32 m0, 0x440, m0                                    // 000000003EB8: 807C7CFF 00000440
	buffer_load_dword v24, s[12:15], s60 offen lds             // 000000003EC0: E0511000 3C030018
	s_add_u32 m0, 0x440, m0                                    // 000000003EC8: 807C7CFF 00000440
	buffer_load_dword v25, s[12:15], s60 offen lds             // 000000003ED0: E0511000 3C030019
	s_add_u32 m0, 0x440, m0                                    // 000000003ED8: 807C7CFF 00000440
	buffer_load_dword v26, s[12:15], s60 offen lds             // 000000003EE0: E0511000 3C03001A
	s_add_u32 m0, 0x440, m0                                    // 000000003EE8: 807C7CFF 00000440
	buffer_load_dword v27, s[12:15], s60 offen lds             // 000000003EF0: E0511000 3C03001B
	s_add_i32 s60, s43, s60                                    // 000000003EF8: 813C3C2B
	s_waitcnt vmcnt(24)                                        // 000000003EFC: BF8C4F78
	s_barrier                                                  // 000000003F00: BF8A0000
	s_cmp_lt_i32 s5, 2                                         // 000000003F04: BF048205
	s_cbranch_scc1 label_031C                                  // 000000003F08: BF850019
	s_nop 0                                                    // 000000003F0C: BF800000
	ds_read_b128 a[0:3], v2                                    // 000000003F10: DBFE0000 00000002
	ds_read_b128 a[4:7], v2 offset:32                          // 000000003F18: DBFE0020 04000002
	ds_read_b128 a[8:11], v2 offset:64                         // 000000003F20: DBFE0040 08000002
	ds_read_b128 a[12:15], v2 offset:96                        // 000000003F28: DBFE0060 0C000002
	ds_read_b128 a[16:19], v2 offset:4352                      // 000000003F30: DBFE1100 10000002
	ds_read_b128 a[20:23], v2 offset:4384                      // 000000003F38: DBFE1120 14000002
	ds_read_b128 a[24:27], v2 offset:4416                      // 000000003F40: DBFE1140 18000002
	ds_read_b128 a[28:31], v2 offset:4448                      // 000000003F48: DBFE1160 1C000002
	ds_read_b128 a[32:35], v2 offset:8704                      // 000000003F50: DBFE2200 20000002
	ds_read_b128 a[36:39], v2 offset:8736                      // 000000003F58: DBFE2220 24000002
	ds_read_b128 a[40:43], v2 offset:8768                      // 000000003F60: DBFE2240 28000002
	ds_read_b128 a[44:47], v2 offset:8800                      // 000000003F68: DBFE2260 2C000002

0000000000003f70 <label_031C>:
	s_waitcnt lgkmcnt(0)                                       // 000000003F70: BF8CC07F
	s_barrier                                                  // 000000003F74: BF8A0000
	buffer_load_dword v164, v28, s[16:19], s35 offen           // 000000003F78: E0501000 2304A41C
	buffer_load_dword v165, v29, s[16:19], s35 offen           // 000000003F80: E0501000 2304A51D
	buffer_load_dword v166, v30, s[16:19], s35 offen           // 000000003F88: E0501000 2304A61E
	buffer_load_dword v167, v31, s[16:19], s35 offen           // 000000003F90: E0501000 2304A71F
	buffer_load_dword v168, v32, s[16:19], s35 offen           // 000000003F98: E0501000 2304A820
	buffer_load_dword v169, v33, s[16:19], s35 offen           // 000000003FA0: E0501000 2304A921
	buffer_load_dword v170, v34, s[16:19], s35 offen           // 000000003FA8: E0501000 2304AA22
	buffer_load_dword v171, v35, s[16:19], s35 offen           // 000000003FB0: E0501000 2304AB23
	s_add_i32 s35, s44, s35                                    // 000000003FB8: 8123232C
	s_waitcnt vmcnt(20)                                        // 000000003FBC: BF8C4F74
	s_barrier                                                  // 000000003FC0: BF8A0000
	s_nop 0                                                    // 000000003FC4: BF800000
	ds_read_b128 a[48:51], v36                                 // 000000003FC8: DBFE0000 30000024
	ds_read_b128 a[52:55], v36 offset:32                       // 000000003FD0: DBFE0020 34000024
	ds_read_b128 a[56:59], v36 offset:64                       // 000000003FD8: DBFE0040 38000024
	ds_read_b128 a[60:63], v36 offset:96                       // 000000003FE0: DBFE0060 3C000024
	ds_read_b128 a[64:67], v36 offset:4352                     // 000000003FE8: DBFE1100 40000024
	ds_read_b128 a[68:71], v36 offset:4384                     // 000000003FF0: DBFE1120 44000024
	ds_read_b128 a[72:75], v36 offset:4416                     // 000000003FF8: DBFE1140 48000024
	ds_read_b128 a[76:79], v36 offset:4448                     // 000000004000: DBFE1160 4C000024
	ds_read_b128 a[80:83], v36 offset:8704                     // 000000004008: DBFE2200 50000024
	ds_read_b128 a[84:87], v36 offset:8736                     // 000000004010: DBFE2220 54000024
	ds_read_b128 a[88:91], v36 offset:8768                     // 000000004018: DBFE2240 58000024
	ds_read_b128 a[92:95], v36 offset:8800                     // 000000004020: DBFE2260 5C000024
	buffer_load_dword v172, v28, s[16:19], s35 offen           // 000000004028: E0501000 2304AC1C
	buffer_load_dword v173, v29, s[16:19], s35 offen           // 000000004030: E0501000 2304AD1D
	buffer_load_dword v174, v30, s[16:19], s35 offen           // 000000004038: E0501000 2304AE1E
	buffer_load_dword v175, v31, s[16:19], s35 offen           // 000000004040: E0501000 2304AF1F
	buffer_load_dword v176, v32, s[16:19], s35 offen           // 000000004048: E0501000 2304B020
	buffer_load_dword v177, v33, s[16:19], s35 offen           // 000000004050: E0501000 2304B121
	buffer_load_dword v178, v34, s[16:19], s35 offen           // 000000004058: E0501000 2304B222
	buffer_load_dword v179, v35, s[16:19], s35 offen           // 000000004060: E0501000 2304B323
	s_add_i32 s35, s44, s35                                    // 000000004068: 8123232C
	s_waitcnt vmcnt(8) lgkmcnt(0)                              // 00000000406C: BF8C0078
	s_barrier                                                  // 000000004070: BF8A0000
	v_mfma_f32_32x32x8_bf16 v[68:83], a[48:49], a[0:1], 0      // 000000004074: D3E00044 1A020130
	s_mov_b32 m0, s68                                          // 00000000407C: BEFC0044
	buffer_load_dword v16, s[12:15], s60 offen lds             // 000000004080: E0511000 3C030010
	v_perm_b32 v180, v165, v164, s50                           // 000000004088: D1ED00B4 00CB49A5
	v_perm_b32 v184, v165, v164, s49                           // 000000004090: D1ED00B8 00C749A5
	v_perm_b32 v181, v167, v166, s50                           // 000000004098: D1ED00B5 00CB4DA7
	v_perm_b32 v185, v167, v166, s49                           // 0000000040A0: D1ED00B9 00C74DA7
	v_mfma_f32_32x32x8_bf16 v[68:83], a[50:51], a[2:3], v[68:83]// 0000000040A8: D3E00044 1D120532
	v_perm_b32 v182, v169, v168, s50                           // 0000000040B0: D1ED00B6 00CB51A9
	v_perm_b32 v186, v169, v168, s49                           // 0000000040B8: D1ED00BA 00C751A9
	v_perm_b32 v183, v171, v170, s50                           // 0000000040C0: D1ED00B7 00CB55AB
	v_perm_b32 v187, v171, v170, s49                           // 0000000040C8: D1ED00BB 00C755AB
	v_mfma_f32_32x32x8_bf16 v[68:83], a[52:53], a[4:5], v[68:83]// 0000000040D0: D3E00044 1D120934
	s_add_u32 m0, 0x440, m0                                    // 0000000040D8: 807C7CFF 00000440
	buffer_load_dword v17, s[12:15], s60 offen lds             // 0000000040E0: E0511000 3C030011
	v_mfma_f32_32x32x8_bf16 v[68:83], a[54:55], a[6:7], v[68:83]// 0000000040E8: D3E00044 1D120D36
	ds_write_b128 v38, v[180:183] offset:26112                 // 0000000040F0: D9BE6600 0000B426
	ds_write_b128 v38, v[184:187] offset:30272                 // 0000000040F8: D9BE7640 0000B826
	v_mfma_f32_32x32x8_bf16 v[68:83], a[56:57], a[8:9], v[68:83]// 000000004100: D3E00044 1D121138
	s_add_u32 m0, 0x440, m0                                    // 000000004108: 807C7CFF 00000440
	buffer_load_dword v18, s[12:15], s60 offen lds             // 000000004110: E0511000 3C030012
	v_mfma_f32_32x32x8_bf16 v[68:83], a[58:59], a[10:11], v[68:83]// 000000004118: D3E00044 1D12153A
	ds_read_b128 a[96:99], v36 offset:13056                    // 000000004120: DBFE3300 60000024
	ds_read_b128 a[100:103], v36 offset:13088                  // 000000004128: DBFE3320 64000024
	v_mfma_f32_32x32x8_bf16 v[68:83], a[60:61], a[12:13], v[68:83]// 000000004130: D3E00044 1D12193C
	s_add_u32 m0, 0x440, m0                                    // 000000004138: 807C7CFF 00000440
	buffer_load_dword v19, s[12:15], s60 offen lds             // 000000004140: E0511000 3C030013
	v_mfma_f32_32x32x8_bf16 v[68:83], a[62:63], a[14:15], v[68:83]// 000000004148: D3E00044 1D121D3E
	ds_read_b128 a[104:107], v36 offset:13120                  // 000000004150: DBFE3340 68000024
	ds_read_b128 a[108:111], v36 offset:13152                  // 000000004158: DBFE3360 6C000024
	v_mfma_f32_32x32x8_bf16 v[68:83], a[64:65], a[16:17], v[68:83]// 000000004160: D3E00044 1D122140
	s_add_u32 m0, 0x440, m0                                    // 000000004168: 807C7CFF 00000440
	buffer_load_dword v20, s[12:15], s60 offen lds             // 000000004170: E0511000 3C030014
	v_mfma_f32_32x32x8_bf16 v[68:83], a[66:67], a[18:19], v[68:83]// 000000004178: D3E00044 1D122542
	ds_read_b128 a[112:115], v36 offset:17408                  // 000000004180: DBFE4400 70000024
	ds_read_b128 a[116:119], v36 offset:17440                  // 000000004188: DBFE4420 74000024
	v_mfma_f32_32x32x8_bf16 v[68:83], a[68:69], a[20:21], v[68:83]// 000000004190: D3E00044 1D122944
	s_add_u32 m0, 0x440, m0                                    // 000000004198: 807C7CFF 00000440
	buffer_load_dword v21, s[12:15], s60 offen lds             // 0000000041A0: E0511000 3C030015
	v_mfma_f32_32x32x8_bf16 v[68:83], a[70:71], a[22:23], v[68:83]// 0000000041A8: D3E00044 1D122D46
	ds_read_b128 a[120:123], v36 offset:17472                  // 0000000041B0: DBFE4440 78000024
	ds_read_b128 a[124:127], v36 offset:17504                  // 0000000041B8: DBFE4460 7C000024
	v_mfma_f32_32x32x8_bf16 v[68:83], a[72:73], a[24:25], v[68:83]// 0000000041C0: D3E00044 1D123148
	s_add_u32 m0, 0x440, m0                                    // 0000000041C8: 807C7CFF 00000440
	buffer_load_dword v22, s[12:15], s60 offen lds             // 0000000041D0: E0511000 3C030016
	v_mfma_f32_32x32x8_bf16 v[68:83], a[74:75], a[26:27], v[68:83]// 0000000041D8: D3E00044 1D12354A
	ds_read_b128 a[128:131], v36 offset:21760                  // 0000000041E0: DBFE5500 80000024
	ds_read_b128 a[132:135], v36 offset:21792                  // 0000000041E8: DBFE5520 84000024
	v_mfma_f32_32x32x8_bf16 v[68:83], a[76:77], a[28:29], v[68:83]// 0000000041F0: D3E00044 1D12394C
	s_add_u32 m0, 0x440, m0                                    // 0000000041F8: 807C7CFF 00000440
	buffer_load_dword v23, s[12:15], s60 offen lds             // 000000004200: E0511000 3C030017
	v_mfma_f32_32x32x8_bf16 v[68:83], a[78:79], a[30:31], v[68:83]// 000000004208: D3E00044 1D123D4E
	ds_read_b128 a[136:139], v36 offset:21824                  // 000000004210: DBFE5540 88000024
	ds_read_b128 a[140:143], v36 offset:21856                  // 000000004218: DBFE5560 8C000024
	v_mfma_f32_32x32x8_bf16 v[68:83], a[80:81], a[32:33], v[68:83]// 000000004220: D3E00044 1D124150
	s_add_u32 m0, 0x440, m0                                    // 000000004228: 807C7CFF 00000440
	buffer_load_dword v24, s[12:15], s60 offen lds             // 000000004230: E0511000 3C030018
	v_mfma_f32_32x32x8_bf16 v[68:83], a[82:83], a[34:35], v[68:83]// 000000004238: D3E00044 1D124552
	v_mfma_f32_32x32x8_bf16 v[68:83], a[84:85], a[36:37], v[68:83]// 000000004240: D3E00044 1D124954
	s_add_u32 m0, 0x440, m0                                    // 000000004248: 807C7CFF 00000440
	buffer_load_dword v25, s[12:15], s60 offen lds             // 000000004250: E0511000 3C030019
	v_mfma_f32_32x32x8_bf16 v[68:83], a[86:87], a[38:39], v[68:83]// 000000004258: D3E00044 1D124D56
	v_mfma_f32_32x32x8_bf16 v[68:83], a[88:89], a[40:41], v[68:83]// 000000004260: D3E00044 1D125158
	s_add_u32 m0, 0x440, m0                                    // 000000004268: 807C7CFF 00000440
	buffer_load_dword v26, s[12:15], s60 offen lds             // 000000004270: E0511000 3C03001A
	v_mfma_f32_32x32x8_bf16 v[68:83], a[90:91], a[42:43], v[68:83]// 000000004278: D3E00044 1D12555A
	v_mfma_f32_32x32x8_bf16 v[68:83], a[92:93], a[44:45], v[68:83]// 000000004280: D3E00044 1D12595C
	s_add_u32 m0, 0x440, m0                                    // 000000004288: 807C7CFF 00000440
	buffer_load_dword v27, s[12:15], s60 offen lds             // 000000004290: E0511000 3C03001B
	v_mfma_f32_32x32x8_bf16 v[68:83], a[94:95], a[46:47], v[68:83]// 000000004298: D3E00044 1D125D5E
	s_add_i32 s60, s43, s60                                    // 0000000042A0: 813C3C2B
	s_waitcnt vmcnt(12) lgkmcnt(0)                             // 0000000042A4: BF8C007C
	s_barrier                                                  // 0000000042A8: BF8A0000
	v_perm_b32 v188, v173, v172, s50                           // 0000000042AC: D1ED00BC 00CB59AD
	v_perm_b32 v192, v173, v172, s49                           // 0000000042B4: D1ED00C0 00C759AD
	v_perm_b32 v189, v175, v174, s50                           // 0000000042BC: D1ED00BD 00CB5DAF
	v_perm_b32 v193, v175, v174, s49                           // 0000000042C4: D1ED00C1 00C75DAF
	v_perm_b32 v190, v177, v176, s50                           // 0000000042CC: D1ED00BE 00CB61B1
	v_perm_b32 v194, v177, v176, s49                           // 0000000042D4: D1ED00C2 00C761B1
	v_perm_b32 v191, v179, v178, s50                           // 0000000042DC: D1ED00BF 00CB65B3
	v_perm_b32 v195, v179, v178, s49                           // 0000000042E4: D1ED00C3 00C765B3
	buffer_load_dword v164, v28, s[16:19], s35 offen           // 0000000042EC: E0501000 2304A41C
	buffer_load_dword v165, v29, s[16:19], s35 offen           // 0000000042F4: E0501000 2304A51D
	buffer_load_dword v166, v30, s[16:19], s35 offen           // 0000000042FC: E0501000 2304A61E
	buffer_load_dword v167, v31, s[16:19], s35 offen           // 000000004304: E0501000 2304A71F
	buffer_load_dword v168, v32, s[16:19], s35 offen           // 00000000430C: E0501000 2304A820
	buffer_load_dword v169, v33, s[16:19], s35 offen           // 000000004314: E0501000 2304A921
	buffer_load_dword v170, v34, s[16:19], s35 offen           // 00000000431C: E0501000 2304AA22
	buffer_load_dword v171, v35, s[16:19], s35 offen           // 000000004324: E0501000 2304AB23
	s_add_i32 s35, s44, s35                                    // 00000000432C: 8123232C
	ds_read_b128 a[144:147], v37 offset:26112                  // 000000004330: DBFE6600 90000025
	ds_read_b128 a[148:151], v37 offset:28160                  // 000000004338: DBFE6E00 94000025
	ds_read_b128 a[152:155], v37 offset:26368                  // 000000004340: DBFE6700 98000025
	ds_read_b128 a[156:159], v37 offset:28416                  // 000000004348: DBFE6F00 9C000025
	ds_read_b128 a[160:163], v37 offset:26624                  // 000000004350: DBFE6800 A0000025
	ds_read_b128 a[164:167], v37 offset:28672                  // 000000004358: DBFE7000 A4000025
	ds_read_b128 a[168:171], v37 offset:26880                  // 000000004360: DBFE6900 A8000025
	ds_read_b128 a[172:175], v37 offset:28928                  // 000000004368: DBFE7100 AC000025
	s_nop 0                                                    // 000000004370: BF800000
	s_cmp_lt_i32 s52, s54                                      // 000000004374: BF043634
	s_cbranch_scc1 label_0462                                  // 000000004378: BF850043
	s_sub_i32 s40, s7, s52                                     // 00000000437C: 81A83407
	v_sub_i32 v40, s40, v54                                    // 000000004380: D29D0028 00026C28
	v_cmp_lt_i32_e64 s[72:73], 0, v40                          // 000000004388: D0C10048 00025080
	v_cmp_lt_i32_e64 s[74:75], 1, v40                          // 000000004390: D0C1004A 00025081
	v_cndmask_b32_e64 v68, v55, v68, s[72:73]                  // 000000004398: D1000044 01228937
	v_cndmask_b32_e64 v69, v55, v69, s[74:75]                  // 0000000043A0: D1000045 012A8B37
	v_cmp_lt_i32_e64 s[72:73], 2, v40                          // 0000000043A8: D0C10048 00025082
	v_cmp_lt_i32_e64 s[74:75], 3, v40                          // 0000000043B0: D0C1004A 00025083
	v_cndmask_b32_e64 v70, v55, v70, s[72:73]                  // 0000000043B8: D1000046 01228D37
	v_cndmask_b32_e64 v71, v55, v71, s[74:75]                  // 0000000043C0: D1000047 012A8F37
	v_cmp_lt_i32_e64 s[72:73], 8, v40                          // 0000000043C8: D0C10048 00025088
	v_cmp_lt_i32_e64 s[74:75], 9, v40                          // 0000000043D0: D0C1004A 00025089
	v_cndmask_b32_e64 v72, v55, v72, s[72:73]                  // 0000000043D8: D1000048 01229137
	v_cndmask_b32_e64 v73, v55, v73, s[74:75]                  // 0000000043E0: D1000049 012A9337
	v_cmp_lt_i32_e64 s[72:73], 10, v40                         // 0000000043E8: D0C10048 0002508A
	v_cmp_lt_i32_e64 s[74:75], 11, v40                         // 0000000043F0: D0C1004A 0002508B
	v_cndmask_b32_e64 v74, v55, v74, s[72:73]                  // 0000000043F8: D100004A 01229537
	v_cndmask_b32_e64 v75, v55, v75, s[74:75]                  // 000000004400: D100004B 012A9737
	v_cmp_lt_i32_e64 s[72:73], 16, v40                         // 000000004408: D0C10048 00025090
	v_cmp_lt_i32_e64 s[74:75], 17, v40                         // 000000004410: D0C1004A 00025091
	v_cndmask_b32_e64 v76, v55, v76, s[72:73]                  // 000000004418: D100004C 01229937
	v_cndmask_b32_e64 v77, v55, v77, s[74:75]                  // 000000004420: D100004D 012A9B37
	v_cmp_lt_i32_e64 s[72:73], 18, v40                         // 000000004428: D0C10048 00025092
	v_cmp_lt_i32_e64 s[74:75], 19, v40                         // 000000004430: D0C1004A 00025093
	v_cndmask_b32_e64 v78, v55, v78, s[72:73]                  // 000000004438: D100004E 01229D37
	v_cndmask_b32_e64 v79, v55, v79, s[74:75]                  // 000000004440: D100004F 012A9F37
	v_cmp_lt_i32_e64 s[72:73], 24, v40                         // 000000004448: D0C10048 00025098
	v_cmp_lt_i32_e64 s[74:75], 25, v40                         // 000000004450: D0C1004A 00025099
	v_cndmask_b32_e64 v80, v55, v80, s[72:73]                  // 000000004458: D1000050 0122A137
	v_cndmask_b32_e64 v81, v55, v81, s[74:75]                  // 000000004460: D1000051 012AA337
	v_cmp_lt_i32_e64 s[72:73], 26, v40                         // 000000004468: D0C10048 0002509A
	v_cmp_lt_i32_e64 s[74:75], 27, v40                         // 000000004470: D0C1004A 0002509B
	v_cndmask_b32_e64 v82, v55, v82, s[72:73]                  // 000000004478: D1000052 0122A537
	v_cndmask_b32_e64 v83, v55, v83, s[74:75]                  // 000000004480: D1000053 012AA737

0000000000004488 <label_0462>:
	v_max3_f32 v49, v68, v69, v52                              // 000000004488: D1D30031 04D28B44
	v_max3_f32 v49, v70, v71, v49                              // 000000004490: D1D30031 04C68F46
	v_max3_f32 v49, v72, v73, v49                              // 000000004498: D1D30031 04C69348
	v_max3_f32 v49, v74, v75, v49                              // 0000000044A0: D1D30031 04C6974A
	v_max3_f32 v49, v76, v77, v49                              // 0000000044A8: D1D30031 04C69B4C
	v_max3_f32 v49, v78, v79, v49                              // 0000000044B0: D1D30031 04C69F4E
	v_max3_f32 v49, v80, v81, v49                              // 0000000044B8: D1D30031 04C6A350
	v_max3_f32 v49, v82, v83, v49                              // 0000000044C0: D1D30031 04C6A752
	ds_permute_b32 v48, v56, v49                               // 0000000044C8: D87C0000 30003138
	v_nop                                                      // 0000000044D0: 7E000000
	s_nop 0                                                    // 0000000044D4: BF800000
	v_nop                                                      // 0000000044D8: 7E000000
	s_waitcnt lgkmcnt(0)                                       // 0000000044DC: BF8CC07F
	v_max_f32_e32 v49, v48, v49                                // 0000000044E0: 16626330
	v_mov_b32_e32 v44, 0                                       // 0000000044E4: 7E580280
	v_mov_b32_e32 v52, v49                                     // 0000000044E8: 7E680331
	v_mul_f32_e32 v51, s56, v49                                // 0000000044EC: 0A666238
	v_mul_f32_e32 v44, s56, v44                                // 0000000044F0: 0A585838
	v_exp_f32_e32 v44, v44                                     // 0000000044F4: 7E58412C
	v_fma_f32 v68, v68, s56, -v51                              // 0000000044F8: D1CB0044 84CC7144
	v_fma_f32 v69, v69, s56, -v51                              // 000000004500: D1CB0045 84CC7145
	v_fma_f32 v70, v70, s56, -v51                              // 000000004508: D1CB0046 84CC7146
	v_fma_f32 v71, v71, s56, -v51                              // 000000004510: D1CB0047 84CC7147
	v_fma_f32 v72, v72, s56, -v51                              // 000000004518: D1CB0048 84CC7148
	v_fma_f32 v73, v73, s56, -v51                              // 000000004520: D1CB0049 84CC7149
	v_fma_f32 v74, v74, s56, -v51                              // 000000004528: D1CB004A 84CC714A
	v_fma_f32 v75, v75, s56, -v51                              // 000000004530: D1CB004B 84CC714B
	v_fma_f32 v76, v76, s56, -v51                              // 000000004538: D1CB004C 84CC714C
	v_fma_f32 v77, v77, s56, -v51                              // 000000004540: D1CB004D 84CC714D
	v_fma_f32 v78, v78, s56, -v51                              // 000000004548: D1CB004E 84CC714E
	v_fma_f32 v79, v79, s56, -v51                              // 000000004550: D1CB004F 84CC714F
	v_fma_f32 v80, v80, s56, -v51                              // 000000004558: D1CB0050 84CC7150
	v_fma_f32 v81, v81, s56, -v51                              // 000000004560: D1CB0051 84CC7151
	v_fma_f32 v82, v82, s56, -v51                              // 000000004568: D1CB0052 84CC7152
	v_fma_f32 v83, v83, s56, -v51                              // 000000004570: D1CB0053 84CC7153
	v_exp_f32_e32 v68, v68                                     // 000000004578: 7E884144
	v_exp_f32_e32 v69, v69                                     // 00000000457C: 7E8A4145
	v_exp_f32_e32 v70, v70                                     // 000000004580: 7E8C4146
	v_exp_f32_e32 v71, v71                                     // 000000004584: 7E8E4147
	v_exp_f32_e32 v72, v72                                     // 000000004588: 7E904148
	v_exp_f32_e32 v73, v73                                     // 00000000458C: 7E924149
	v_exp_f32_e32 v74, v74                                     // 000000004590: 7E94414A
	v_exp_f32_e32 v75, v75                                     // 000000004594: 7E96414B
	v_exp_f32_e32 v76, v76                                     // 000000004598: 7E98414C
	v_exp_f32_e32 v77, v77                                     // 00000000459C: 7E9A414D
	v_exp_f32_e32 v78, v78                                     // 0000000045A0: 7E9C414E
	v_mov_b32_e32 v45, v44                                     // 0000000045A4: 7E5A032C
	v_mul_f32_e32 v128, v44, v128                              // 0000000045A8: 0B01012C
	v_mul_f32_e32 v129, v44, v129                              // 0000000045AC: 0B03032C
	v_pk_mul_f32 v[130:131], v[44:45], v[130:131]              // 0000000045B0: D3B14082 1803052C
	v_pk_mul_f32 v[132:133], v[44:45], v[132:133]              // 0000000045B8: D3B14084 1803092C
	v_pk_mul_f32 v[134:135], v[44:45], v[134:135]              // 0000000045C0: D3B14086 18030D2C
	v_pk_mul_f32 v[136:137], v[44:45], v[136:137]              // 0000000045C8: D3B14088 1803112C
	v_pk_mul_f32 v[138:139], v[44:45], v[138:139]              // 0000000045D0: D3B1408A 1803152C
	v_pk_mul_f32 v[140:141], v[44:45], v[140:141]              // 0000000045D8: D3B1408C 1803192C
	v_pk_mul_f32 v[142:143], v[44:45], v[142:143]              // 0000000045E0: D3B1408E 18031D2C
	v_pk_mul_f32 v[144:145], v[44:45], v[144:145]              // 0000000045E8: D3B14090 1803212C
	v_pk_mul_f32 v[146:147], v[44:45], v[146:147]              // 0000000045F0: D3B14092 1803252C
	v_pk_mul_f32 v[148:149], v[44:45], v[148:149]              // 0000000045F8: D3B14094 1803292C
	v_pk_mul_f32 v[150:151], v[44:45], v[150:151]              // 000000004600: D3B14096 18032D2C
	v_pk_mul_f32 v[152:153], v[44:45], v[152:153]              // 000000004608: D3B14098 1803312C
	v_pk_mul_f32 v[154:155], v[44:45], v[154:155]              // 000000004610: D3B1409A 1803352C
	v_pk_mul_f32 v[156:157], v[44:45], v[156:157]              // 000000004618: D3B1409C 1803392C
	v_pk_mul_f32 v[158:159], v[44:45], v[158:159]              // 000000004620: D3B1409E 18033D2C
	v_pk_mul_f32 v[160:161], v[44:45], v[160:161]              // 000000004628: D3B140A0 1803412C
	v_pk_mul_f32 v[162:163], v[44:45], v[162:163]              // 000000004630: D3B140A2 1803452C
	s_addk_i32 s39, 0x20                                       // 000000004638: B7270020
	s_add_i32 s52, s52, s53                                    // 00000000463C: 81343534
	s_cmp_lt_i32 s39, s38                                      // 000000004640: BF042627
	s_cbranch_scc0 label_0E18                                  // 000000004644: BF840946
	s_cmp_lt_i32 s5, 2                                         // 000000004648: BF048205
	s_cbranch_scc0 label_0976                                  // 00000000464C: BF8404A2
	s_nop 0                                                    // 000000004650: BF800000

0000000000004654 <label_04D5>:
	s_waitcnt vmcnt(8) lgkmcnt(8)                              // 000000004654: BF8C0878
	s_barrier                                                  // 000000004658: BF8A0000
	v_mfma_f32_32x32x8_bf16 v[84:99], a[96:97], a[0:1], 0      // 00000000465C: D3E00054 1A020160
	s_mov_b32 m0, s69                                          // 000000004664: BEFC0045
	buffer_load_dword v16, s[12:15], s60 offen lds             // 000000004668: E0511000 3C030010
	ds_write_b128 v38, v[188:191] offset:34432                 // 000000004670: D9BE8680 0000BC26
	v_mfma_f32_32x32x8_bf16 v[84:99], a[98:99], a[2:3], v[84:99]// 000000004678: D3E00054 1D520562
	v_exp_f32_e32 v79, v79                                     // 000000004680: 7E9E414F
	v_exp_f32_e32 v80, v80                                     // 000000004684: 7EA04150
	v_mfma_f32_32x32x8_bf16 v[84:99], a[100:101], a[4:5], v[84:99]// 000000004688: D3E00054 1D520964
	s_add_u32 m0, 0x440, m0                                    // 000000004690: 807C7CFF 00000440
	buffer_load_dword v17, s[12:15], s60 offen lds             // 000000004698: E0511000 3C030011
	ds_write_b128 v38, v[192:195] offset:38592                 // 0000000046A0: D9BE96C0 0000C026
	v_mfma_f32_32x32x8_bf16 v[84:99], a[102:103], a[6:7], v[84:99]// 0000000046A8: D3E00054 1D520D66
	v_exp_f32_e32 v81, v81                                     // 0000000046B0: 7EA24151
	v_exp_f32_e32 v82, v82                                     // 0000000046B4: 7EA44152
	v_mfma_f32_32x32x8_bf16 v[84:99], a[104:105], a[8:9], v[84:99]// 0000000046B8: D3E00054 1D521168
	s_add_u32 m0, 0x440, m0                                    // 0000000046C0: 807C7CFF 00000440
	buffer_load_dword v18, s[12:15], s60 offen lds             // 0000000046C8: E0511000 3C030012
	ds_read_b128 a[48:51], v36                                 // 0000000046D0: DBFE0000 30000024
	ds_read_b128 a[52:55], v36 offset:32                       // 0000000046D8: DBFE0020 34000024
	v_exp_f32_e32 v83, v83                                     // 0000000046E0: 7EA64153
	v_mfma_f32_32x32x8_bf16 v[84:99], a[106:107], a[10:11], v[84:99]// 0000000046E4: D3E00054 1D52156A
	v_mul_f32_e32 v46, v44, v46                                // 0000000046EC: 0A5C5D2C
	v_add_f32_e32 v62, v69, v68                                // 0000000046F0: 027C8945
	v_add_f32_e32 v62, v70, v62                                // 0000000046F4: 027C7D46
	v_add_f32_e32 v62, v71, v62                                // 0000000046F8: 027C7D47
	v_add_f32_e32 v62, v72, v62                                // 0000000046FC: 027C7D48
	v_add_f32_e32 v62, v73, v62                                // 000000004700: 027C7D49
	v_add_f32_e32 v62, v74, v62                                // 000000004704: 027C7D4A
	v_mfma_f32_32x32x8_bf16 v[84:99], a[108:109], a[12:13], v[84:99]// 000000004708: D3E00054 1D52196C
	s_add_u32 m0, 0x440, m0                                    // 000000004710: 807C7CFF 00000440
	buffer_load_dword v19, s[12:15], s60 offen lds             // 000000004718: E0511000 3C030013
	ds_read_b128 a[56:59], v36 offset:64                       // 000000004720: DBFE0040 38000024
	ds_read_b128 a[60:63], v36 offset:96                       // 000000004728: DBFE0060 3C000024
	v_add_f32_e32 v62, v75, v62                                // 000000004730: 027C7D4B
	v_add_f32_e32 v62, v76, v62                                // 000000004734: 027C7D4C
	v_mfma_f32_32x32x8_bf16 v[84:99], a[110:111], a[14:15], v[84:99]// 000000004738: D3E00054 1D521D6E
	v_add_f32_e32 v62, v77, v62                                // 000000004740: 027C7D4D
	v_add_f32_e32 v62, v78, v62                                // 000000004744: 027C7D4E
	v_add_f32_e32 v62, v79, v62                                // 000000004748: 027C7D4F
	v_add_f32_e32 v62, v80, v62                                // 00000000474C: 027C7D50
	v_add_f32_e32 v62, v81, v62                                // 000000004750: 027C7D51
	v_add_f32_e32 v62, v82, v62                                // 000000004754: 027C7D52
	v_add_f32_e32 v62, v83, v62                                // 000000004758: 027C7D53
	v_mfma_f32_32x32x8_bf16 v[84:99], a[112:113], a[16:17], v[84:99]// 00000000475C: D3E00054 1D522170
	s_add_u32 m0, 0x440, m0                                    // 000000004764: 807C7CFF 00000440
	buffer_load_dword v20, s[12:15], s60 offen lds             // 00000000476C: E0511000 3C030014
	ds_read_b128 a[64:67], v36 offset:4352                     // 000000004774: DBFE1100 40000024
	ds_read_b128 a[68:71], v36 offset:4384                     // 00000000477C: DBFE1120 44000024
	v_add_f32_e32 v46, v62, v46                                // 000000004784: 025C5D3E
	v_mul_f32_e32 v100, v44, v100                              // 000000004788: 0AC8C92C
	v_mfma_f32_32x32x8_bf16 v[84:99], a[114:115], a[18:19], v[84:99]// 00000000478C: D3E00054 1D522572
	v_mul_f32_e32 v101, v44, v101                              // 000000004794: 0ACACB2C
	v_mul_f32_e32 v102, v44, v102                              // 000000004798: 0ACCCD2C
	v_mul_f32_e32 v103, v44, v103                              // 00000000479C: 0ACECF2C
	v_mul_f32_e32 v104, v44, v104                              // 0000000047A0: 0AD0D12C
	v_mul_f32_e32 v105, v44, v105                              // 0000000047A4: 0AD2D32C
	v_mul_f32_e32 v106, v44, v106                              // 0000000047A8: 0AD4D52C
	v_mul_f32_e32 v107, v44, v107                              // 0000000047AC: 0AD6D72C
	v_mfma_f32_32x32x8_bf16 v[84:99], a[116:117], a[20:21], v[84:99]// 0000000047B0: D3E00054 1D522974
	s_add_u32 m0, 0x440, m0                                    // 0000000047B8: 807C7CFF 00000440
	buffer_load_dword v21, s[12:15], s60 offen lds             // 0000000047C0: E0511000 3C030015
	ds_read_b128 a[72:75], v36 offset:4416                     // 0000000047C8: DBFE1140 48000024
	ds_read_b128 a[76:79], v36 offset:4448                     // 0000000047D0: DBFE1160 4C000024
	v_mul_f32_e32 v108, v44, v108                              // 0000000047D8: 0AD8D92C
	v_mul_f32_e32 v109, v44, v109                              // 0000000047DC: 0ADADB2C
	v_mfma_f32_32x32x8_bf16 v[84:99], a[118:119], a[22:23], v[84:99]// 0000000047E0: D3E00054 1D522D76
	v_mul_f32_e32 v110, v44, v110                              // 0000000047E8: 0ADCDD2C
	v_mul_f32_e32 v111, v44, v111                              // 0000000047EC: 0ADEDF2C
	v_mul_f32_e32 v112, v44, v112                              // 0000000047F0: 0AE0E12C
	v_mul_f32_e32 v113, v44, v113                              // 0000000047F4: 0AE2E32C
	v_mul_f32_e32 v114, v44, v114                              // 0000000047F8: 0AE4E52C
	v_mul_f32_e32 v115, v44, v115                              // 0000000047FC: 0AE6E72C
	v_mul_f32_e32 v116, v44, v116                              // 000000004800: 0AE8E92C
	v_mfma_f32_32x32x8_bf16 v[84:99], a[120:121], a[24:25], v[84:99]// 000000004804: D3E00054 1D523178
	s_add_u32 m0, 0x440, m0                                    // 00000000480C: 807C7CFF 00000440
	buffer_load_dword v22, s[12:15], s60 offen lds             // 000000004814: E0511000 3C030016
	ds_read_b128 a[80:83], v36 offset:8704                     // 00000000481C: DBFE2200 50000024
	ds_read_b128 a[84:87], v36 offset:8736                     // 000000004824: DBFE2220 54000024
	v_mul_f32_e32 v117, v44, v117                              // 00000000482C: 0AEAEB2C
	v_mul_f32_e32 v118, v44, v118                              // 000000004830: 0AECED2C
	v_mfma_f32_32x32x8_bf16 v[84:99], a[122:123], a[26:27], v[84:99]// 000000004834: D3E00054 1D52357A
	v_mul_f32_e32 v119, v44, v119                              // 00000000483C: 0AEEEF2C
	v_mul_f32_e32 v120, v44, v120                              // 000000004840: 0AF0F12C
	v_mul_f32_e32 v121, v44, v121                              // 000000004844: 0AF2F32C
	v_mul_f32_e32 v122, v44, v122                              // 000000004848: 0AF4F52C
	v_mul_f32_e32 v123, v44, v123                              // 00000000484C: 0AF6F72C
	v_mul_f32_e32 v124, v44, v124                              // 000000004850: 0AF8F92C
	v_mul_f32_e32 v125, v44, v125                              // 000000004854: 0AFAFB2C
	v_mfma_f32_32x32x8_bf16 v[84:99], a[124:125], a[28:29], v[84:99]// 000000004858: D3E00054 1D52397C
	s_add_u32 m0, 0x440, m0                                    // 000000004860: 807C7CFF 00000440
	buffer_load_dword v23, s[12:15], s60 offen lds             // 000000004868: E0511000 3C030017
	ds_read_b128 a[88:91], v36 offset:8768                     // 000000004870: DBFE2240 58000024
	ds_read_b128 a[92:95], v36 offset:8800                     // 000000004878: DBFE2260 5C000024
	v_mul_f32_e32 v126, v44, v126                              // 000000004880: 0AFCFD2C
	v_mul_f32_e32 v127, v44, v127                              // 000000004884: 0AFEFF2C
	v_mfma_f32_32x32x8_bf16 v[84:99], a[126:127], a[30:31], v[84:99]// 000000004888: D3E00054 1D523D7E
	v_cmp_u_f32_e64 s[70:71], v68, v68                         // 000000004890: D0480046 00028944
	v_bfe_u32 v64, v68, 16, 1                                  // 000000004898: D1C80040 02052144
	v_add3_u32 v64, v68, v64, v67                              // 0000000048A0: D1FF0040 050E8144
	v_cndmask_b32_e64 v40, v64, v66, s[70:71]                  // 0000000048A8: D1000028 011A8540
	v_lshrrev_b32_e32 v40, 16, v40                             // 0000000048B0: 20505090
	v_cmp_u_f32_e64 s[70:71], v69, v69                         // 0000000048B4: D0480046 00028B45
	v_bfe_u32 v64, v69, 16, 1                                  // 0000000048BC: D1C80040 02052145
	v_add3_u32 v64, v69, v64, v67                              // 0000000048C4: D1FF0040 050E8145
	v_cndmask_b32_e64 v41, v64, v66, s[70:71]                  // 0000000048CC: D1000029 011A8540
	v_and_or_b32 v68, v41, v65, v40                            // 0000000048D4: D2010044 04A28329
	v_mfma_f32_32x32x8_bf16 v[84:99], a[128:129], a[32:33], v[84:99]// 0000000048DC: D3E00054 1D524180
	s_add_u32 m0, 0x440, m0                                    // 0000000048E4: 807C7CFF 00000440
	buffer_load_dword v24, s[12:15], s60 offen lds             // 0000000048EC: E0511000 3C030018
	v_cmp_u_f32_e64 s[70:71], v70, v70                         // 0000000048F4: D0480046 00028D46
	v_bfe_u32 v64, v70, 16, 1                                  // 0000000048FC: D1C80040 02052146
	v_add3_u32 v64, v70, v64, v67                              // 000000004904: D1FF0040 050E8146
	v_cndmask_b32_e64 v40, v64, v66, s[70:71]                  // 00000000490C: D1000028 011A8540
	v_lshrrev_b32_e32 v40, 16, v40                             // 000000004914: 20505090
	v_cmp_u_f32_e64 s[70:71], v71, v71                         // 000000004918: D0480046 00028F47
	v_bfe_u32 v64, v71, 16, 1                                  // 000000004920: D1C80040 02052147
	v_add3_u32 v64, v71, v64, v67                              // 000000004928: D1FF0040 050E8147
	v_cndmask_b32_e64 v41, v64, v66, s[70:71]                  // 000000004930: D1000029 011A8540
	v_and_or_b32 v69, v41, v65, v40                            // 000000004938: D2010045 04A28329
	v_mfma_f32_32x32x8_bf16 v[84:99], a[130:131], a[34:35], v[84:99]// 000000004940: D3E00054 1D524582
	v_cmp_u_f32_e64 s[70:71], v72, v72                         // 000000004948: D0480046 00029148
	v_bfe_u32 v64, v72, 16, 1                                  // 000000004950: D1C80040 02052148
	v_add3_u32 v64, v72, v64, v67                              // 000000004958: D1FF0040 050E8148
	v_cndmask_b32_e64 v40, v64, v66, s[70:71]                  // 000000004960: D1000028 011A8540
	v_lshrrev_b32_e32 v40, 16, v40                             // 000000004968: 20505090
	v_cmp_u_f32_e64 s[70:71], v73, v73                         // 00000000496C: D0480046 00029349
	v_bfe_u32 v64, v73, 16, 1                                  // 000000004974: D1C80040 02052149
	v_add3_u32 v64, v73, v64, v67                              // 00000000497C: D1FF0040 050E8149
	v_cndmask_b32_e64 v41, v64, v66, s[70:71]                  // 000000004984: D1000029 011A8540
	v_and_or_b32 v70, v41, v65, v40                            // 00000000498C: D2010046 04A28329
	v_mfma_f32_32x32x8_bf16 v[84:99], a[132:133], a[36:37], v[84:99]// 000000004994: D3E00054 1D524984
	s_add_u32 m0, 0x440, m0                                    // 00000000499C: 807C7CFF 00000440
	buffer_load_dword v25, s[12:15], s60 offen lds             // 0000000049A4: E0511000 3C030019
	v_cmp_u_f32_e64 s[70:71], v74, v74                         // 0000000049AC: D0480046 0002954A
	v_bfe_u32 v64, v74, 16, 1                                  // 0000000049B4: D1C80040 0205214A
	v_add3_u32 v64, v74, v64, v67                              // 0000000049BC: D1FF0040 050E814A
	v_cndmask_b32_e64 v40, v64, v66, s[70:71]                  // 0000000049C4: D1000028 011A8540
	v_lshrrev_b32_e32 v40, 16, v40                             // 0000000049CC: 20505090
	v_cmp_u_f32_e64 s[70:71], v75, v75                         // 0000000049D0: D0480046 0002974B
	v_bfe_u32 v64, v75, 16, 1                                  // 0000000049D8: D1C80040 0205214B
	v_add3_u32 v64, v75, v64, v67                              // 0000000049E0: D1FF0040 050E814B
	v_cndmask_b32_e64 v41, v64, v66, s[70:71]                  // 0000000049E8: D1000029 011A8540
	v_and_or_b32 v71, v41, v65, v40                            // 0000000049F0: D2010047 04A28329
	v_mfma_f32_32x32x8_bf16 v[84:99], a[134:135], a[38:39], v[84:99]// 0000000049F8: D3E00054 1D524D86
	v_cmp_u_f32_e64 s[70:71], v76, v76                         // 000000004A00: D0480046 0002994C
	v_bfe_u32 v64, v76, 16, 1                                  // 000000004A08: D1C80040 0205214C
	v_add3_u32 v64, v76, v64, v67                              // 000000004A10: D1FF0040 050E814C
	v_cndmask_b32_e64 v40, v64, v66, s[70:71]                  // 000000004A18: D1000028 011A8540
	v_lshrrev_b32_e32 v40, 16, v40                             // 000000004A20: 20505090
	v_cmp_u_f32_e64 s[70:71], v77, v77                         // 000000004A24: D0480046 00029B4D
	v_bfe_u32 v64, v77, 16, 1                                  // 000000004A2C: D1C80040 0205214D
	v_add3_u32 v64, v77, v64, v67                              // 000000004A34: D1FF0040 050E814D
	v_cndmask_b32_e64 v41, v64, v66, s[70:71]                  // 000000004A3C: D1000029 011A8540
	v_and_or_b32 v72, v41, v65, v40                            // 000000004A44: D2010048 04A28329
	v_mfma_f32_32x32x8_bf16 v[84:99], a[136:137], a[40:41], v[84:99]// 000000004A4C: D3E00054 1D525188
	s_add_u32 m0, 0x440, m0                                    // 000000004A54: 807C7CFF 00000440
	buffer_load_dword v26, s[12:15], s60 offen lds             // 000000004A5C: E0511000 3C03001A
	v_cmp_u_f32_e64 s[70:71], v78, v78                         // 000000004A64: D0480046 00029D4E
	v_bfe_u32 v64, v78, 16, 1                                  // 000000004A6C: D1C80040 0205214E
	v_add3_u32 v64, v78, v64, v67                              // 000000004A74: D1FF0040 050E814E
	v_cndmask_b32_e64 v40, v64, v66, s[70:71]                  // 000000004A7C: D1000028 011A8540
	v_lshrrev_b32_e32 v40, 16, v40                             // 000000004A84: 20505090
	v_cmp_u_f32_e64 s[70:71], v79, v79                         // 000000004A88: D0480046 00029F4F
	v_bfe_u32 v64, v79, 16, 1                                  // 000000004A90: D1C80040 0205214F
	v_add3_u32 v64, v79, v64, v67                              // 000000004A98: D1FF0040 050E814F
	v_cndmask_b32_e64 v41, v64, v66, s[70:71]                  // 000000004AA0: D1000029 011A8540
	v_and_or_b32 v73, v41, v65, v40                            // 000000004AA8: D2010049 04A28329
	v_mfma_f32_32x32x8_bf16 v[84:99], a[138:139], a[42:43], v[84:99]// 000000004AB0: D3E00054 1D52558A
	v_cmp_u_f32_e64 s[70:71], v80, v80                         // 000000004AB8: D0480046 0002A150
	v_bfe_u32 v64, v80, 16, 1                                  // 000000004AC0: D1C80040 02052150
	v_add3_u32 v64, v80, v64, v67                              // 000000004AC8: D1FF0040 050E8150
	v_cndmask_b32_e64 v40, v64, v66, s[70:71]                  // 000000004AD0: D1000028 011A8540
	v_lshrrev_b32_e32 v40, 16, v40                             // 000000004AD8: 20505090
	v_cmp_u_f32_e64 s[70:71], v81, v81                         // 000000004ADC: D0480046 0002A351
	v_bfe_u32 v64, v81, 16, 1                                  // 000000004AE4: D1C80040 02052151
	v_add3_u32 v64, v81, v64, v67                              // 000000004AEC: D1FF0040 050E8151
	v_cndmask_b32_e64 v41, v64, v66, s[70:71]                  // 000000004AF4: D1000029 011A8540
	v_and_or_b32 v74, v41, v65, v40                            // 000000004AFC: D201004A 04A28329
	v_mfma_f32_32x32x8_bf16 v[84:99], a[140:141], a[44:45], v[84:99]// 000000004B04: D3E00054 1D52598C
	s_add_u32 m0, 0x440, m0                                    // 000000004B0C: 807C7CFF 00000440
	buffer_load_dword v27, s[12:15], s60 offen lds             // 000000004B14: E0511000 3C03001B
	v_cmp_u_f32_e64 s[70:71], v82, v82                         // 000000004B1C: D0480046 0002A552
	v_bfe_u32 v64, v82, 16, 1                                  // 000000004B24: D1C80040 02052152
	v_add3_u32 v64, v82, v64, v67                              // 000000004B2C: D1FF0040 050E8152
	v_cndmask_b32_e64 v40, v64, v66, s[70:71]                  // 000000004B34: D1000028 011A8540
	v_lshrrev_b32_e32 v40, 16, v40                             // 000000004B3C: 20505090
	v_cmp_u_f32_e64 s[70:71], v83, v83                         // 000000004B40: D0480046 0002A753
	v_bfe_u32 v64, v83, 16, 1                                  // 000000004B48: D1C80040 02052153
	v_add3_u32 v64, v83, v64, v67                              // 000000004B50: D1FF0040 050E8153
	v_cndmask_b32_e64 v41, v64, v66, s[70:71]                  // 000000004B58: D1000029 011A8540
	v_and_or_b32 v75, v41, v65, v40                            // 000000004B60: D201004B 04A28329
	v_mfma_f32_32x32x8_bf16 v[84:99], a[142:143], a[46:47], v[84:99]// 000000004B68: D3E00054 1D525D8E
	s_add_i32 s60, s43, s60                                    // 000000004B70: 813C3C2B
	s_cmp_lt_i32 s52, s54                                      // 000000004B74: BF043634
	s_cbranch_scc1 label_0662                                  // 000000004B78: BF850043
	s_sub_i32 s40, s7, s52                                     // 000000004B7C: 81A83407
	v_sub_i32 v40, s40, v54                                    // 000000004B80: D29D0028 00026C28
	v_cmp_lt_i32_e64 s[72:73], 0, v40                          // 000000004B88: D0C10048 00025080
	v_cmp_lt_i32_e64 s[74:75], 1, v40                          // 000000004B90: D0C1004A 00025081
	v_cndmask_b32_e64 v84, v55, v84, s[72:73]                  // 000000004B98: D1000054 0122A937
	v_cndmask_b32_e64 v85, v55, v85, s[74:75]                  // 000000004BA0: D1000055 012AAB37
	v_cmp_lt_i32_e64 s[72:73], 2, v40                          // 000000004BA8: D0C10048 00025082
	v_cmp_lt_i32_e64 s[74:75], 3, v40                          // 000000004BB0: D0C1004A 00025083
	v_cndmask_b32_e64 v86, v55, v86, s[72:73]                  // 000000004BB8: D1000056 0122AD37
	v_cndmask_b32_e64 v87, v55, v87, s[74:75]                  // 000000004BC0: D1000057 012AAF37
	v_cmp_lt_i32_e64 s[72:73], 8, v40                          // 000000004BC8: D0C10048 00025088
	v_cmp_lt_i32_e64 s[74:75], 9, v40                          // 000000004BD0: D0C1004A 00025089
	v_cndmask_b32_e64 v88, v55, v88, s[72:73]                  // 000000004BD8: D1000058 0122B137
	v_cndmask_b32_e64 v89, v55, v89, s[74:75]                  // 000000004BE0: D1000059 012AB337
	v_cmp_lt_i32_e64 s[72:73], 10, v40                         // 000000004BE8: D0C10048 0002508A
	v_cmp_lt_i32_e64 s[74:75], 11, v40                         // 000000004BF0: D0C1004A 0002508B
	v_cndmask_b32_e64 v90, v55, v90, s[72:73]                  // 000000004BF8: D100005A 0122B537
	v_cndmask_b32_e64 v91, v55, v91, s[74:75]                  // 000000004C00: D100005B 012AB737
	v_cmp_lt_i32_e64 s[72:73], 16, v40                         // 000000004C08: D0C10048 00025090
	v_cmp_lt_i32_e64 s[74:75], 17, v40                         // 000000004C10: D0C1004A 00025091
	v_cndmask_b32_e64 v92, v55, v92, s[72:73]                  // 000000004C18: D100005C 0122B937
	v_cndmask_b32_e64 v93, v55, v93, s[74:75]                  // 000000004C20: D100005D 012ABB37
	v_cmp_lt_i32_e64 s[72:73], 18, v40                         // 000000004C28: D0C10048 00025092
	v_cmp_lt_i32_e64 s[74:75], 19, v40                         // 000000004C30: D0C1004A 00025093
	v_cndmask_b32_e64 v94, v55, v94, s[72:73]                  // 000000004C38: D100005E 0122BD37
	v_cndmask_b32_e64 v95, v55, v95, s[74:75]                  // 000000004C40: D100005F 012ABF37
	v_cmp_lt_i32_e64 s[72:73], 24, v40                         // 000000004C48: D0C10048 00025098
	v_cmp_lt_i32_e64 s[74:75], 25, v40                         // 000000004C50: D0C1004A 00025099
	v_cndmask_b32_e64 v96, v55, v96, s[72:73]                  // 000000004C58: D1000060 0122C137
	v_cndmask_b32_e64 v97, v55, v97, s[74:75]                  // 000000004C60: D1000061 012AC337
	v_cmp_lt_i32_e64 s[72:73], 26, v40                         // 000000004C68: D0C10048 0002509A
	v_cmp_lt_i32_e64 s[74:75], 27, v40                         // 000000004C70: D0C1004A 0002509B
	v_cndmask_b32_e64 v98, v55, v98, s[72:73]                  // 000000004C78: D1000062 0122C537
	v_cndmask_b32_e64 v99, v55, v99, s[74:75]                  // 000000004C80: D1000063 012AC737

0000000000004c88 <label_0662>:
	s_waitcnt vmcnt(12) lgkmcnt(12)                            // 000000004C88: BF8C0C7C
	s_barrier                                                  // 000000004C8C: BF8A0000
	v_mfma_f32_32x32x8_bf16 v[100:115], a[144:145], v[68:69], v[100:115]// 000000004C90: D3E00064 0D928990
	buffer_load_dword v172, v28, s[16:19], s35 offen           // 000000004C98: E0501000 2304AC1C
	v_max3_f32 v49, v84, v85, v52                              // 000000004CA0: D1D30031 04D2AB54
	v_max3_f32 v49, v86, v87, v49                              // 000000004CA8: D1D30031 04C6AF56
	v_max3_f32 v49, v88, v89, v49                              // 000000004CB0: D1D30031 04C6B358
	v_max3_f32 v49, v90, v91, v49                              // 000000004CB8: D1D30031 04C6B75A
	v_max3_f32 v49, v92, v93, v49                              // 000000004CC0: D1D30031 04C6BB5C
	v_max3_f32 v49, v94, v95, v49                              // 000000004CC8: D1D30031 04C6BF5E
	v_mfma_f32_32x32x8_bf16 v[100:115], a[146:147], v[70:71], v[100:115]// 000000004CD0: D3E00064 0D928D92
	v_max3_f32 v49, v96, v97, v49                              // 000000004CD8: D1D30031 04C6C360
	v_max3_f32 v49, v98, v99, v49                              // 000000004CE0: D1D30031 04C6C762
	ds_permute_b32 v48, v56, v49                               // 000000004CE8: D87C0000 30003138
	v_mfma_f32_32x32x8_bf16 v[100:115], a[148:149], v[72:73], v[100:115]// 000000004CF0: D3E00064 0D929194
	buffer_load_dword v173, v29, s[16:19], s35 offen           // 000000004CF8: E0501000 2304AD1D
	v_perm_b32 v180, v165, v164, s50                           // 000000004D00: D1ED00B4 00CB49A5
	v_perm_b32 v184, v165, v164, s49                           // 000000004D08: D1ED00B8 00C749A5
	v_perm_b32 v181, v167, v166, s50                           // 000000004D10: D1ED00B5 00CB4DA7
	v_perm_b32 v185, v167, v166, s49                           // 000000004D18: D1ED00B9 00C74DA7
	v_nop                                                      // 000000004D20: 7E000000
	s_nop 0                                                    // 000000004D24: BF800000
	v_mfma_f32_32x32x8_bf16 v[100:115], a[150:151], v[74:75], v[100:115]// 000000004D28: D3E00064 0D929596
	v_perm_b32 v182, v169, v168, s50                           // 000000004D30: D1ED00B6 00CB51A9
	v_perm_b32 v186, v169, v168, s49                           // 000000004D38: D1ED00BA 00C751A9
	v_perm_b32 v183, v171, v170, s50                           // 000000004D40: D1ED00B7 00CB55AB
	v_perm_b32 v187, v171, v170, s49                           // 000000004D48: D1ED00BB 00C755AB
	v_nop                                                      // 000000004D50: 7E000000
	v_mfma_f32_32x32x8_bf16 v[116:131], a[152:153], v[68:69], v[116:131]// 000000004D54: D3E00074 0DD28998
	buffer_load_dword v174, v30, s[16:19], s35 offen           // 000000004D5C: E0501000 2304AE1E
	s_waitcnt lgkmcnt(0)                                       // 000000004D64: BF8CC07F
	v_max_f32_e32 v49, v48, v49                                // 000000004D68: 16626330
	v_sub_f32_e32 v44, v52, v49                                // 000000004D6C: 04586334
	v_mov_b32_e32 v52, v49                                     // 000000004D70: 7E680331
	v_mul_f32_e32 v51, s56, v49                                // 000000004D74: 0A666238
	v_mfma_f32_32x32x8_bf16 v[116:131], a[154:155], v[70:71], v[116:131]// 000000004D78: D3E00074 0DD28D9A
	v_mul_f32_e32 v44, s56, v44                                // 000000004D80: 0A585838
	v_exp_f32_e32 v44, v44                                     // 000000004D84: 7E58412C
	v_fma_f32 v84, v84, s56, -v51                              // 000000004D88: D1CB0054 84CC7154
	v_fma_f32 v85, v85, s56, -v51                              // 000000004D90: D1CB0055 84CC7155
	v_mfma_f32_32x32x8_bf16 v[116:131], a[156:157], v[72:73], v[116:131]// 000000004D98: D3E00074 0DD2919C
	buffer_load_dword v175, v31, s[16:19], s35 offen           // 000000004DA0: E0501000 2304AF1F
	ds_read_b128 a[176:179], v37 offset:34432                  // 000000004DA8: DBFE8680 B0000025
	ds_read_b128 a[180:183], v37 offset:36480                  // 000000004DB0: DBFE8E80 B4000025
	ds_read_b128 a[184:187], v37 offset:34688                  // 000000004DB8: DBFE8780 B8000025
	ds_read_b128 a[188:191], v37 offset:36736                  // 000000004DC0: DBFE8F80 BC000025
	v_mfma_f32_32x32x8_bf16 v[116:131], a[158:159], v[74:75], v[116:131]// 000000004DC8: D3E00074 0DD2959E
	v_fma_f32 v86, v86, s56, -v51                              // 000000004DD0: D1CB0056 84CC7156
	v_fma_f32 v87, v87, s56, -v51                              // 000000004DD8: D1CB0057 84CC7157
	v_fma_f32 v88, v88, s56, -v51                              // 000000004DE0: D1CB0058 84CC7158
	v_fma_f32 v89, v89, s56, -v51                              // 000000004DE8: D1CB0059 84CC7159
	v_fma_f32 v90, v90, s56, -v51                              // 000000004DF0: D1CB005A 84CC715A
	v_fma_f32 v91, v91, s56, -v51                              // 000000004DF8: D1CB005B 84CC715B
	v_fma_f32 v92, v92, s56, -v51                              // 000000004E00: D1CB005C 84CC715C
	v_mfma_f32_32x32x8_bf16 v[132:147], a[160:161], v[68:69], v[132:147]// 000000004E08: D3E00084 0E1289A0
	buffer_load_dword v176, v32, s[16:19], s35 offen           // 000000004E10: E0501000 2304B020
	v_fma_f32 v93, v93, s56, -v51                              // 000000004E18: D1CB005D 84CC715D
	v_fma_f32 v94, v94, s56, -v51                              // 000000004E20: D1CB005E 84CC715E
	v_fma_f32 v95, v95, s56, -v51                              // 000000004E28: D1CB005F 84CC715F
	v_fma_f32 v96, v96, s56, -v51                              // 000000004E30: D1CB0060 84CC7160
	v_fma_f32 v97, v97, s56, -v51                              // 000000004E38: D1CB0061 84CC7161
	v_fma_f32 v98, v98, s56, -v51                              // 000000004E40: D1CB0062 84CC7162
	v_mfma_f32_32x32x8_bf16 v[132:147], a[162:163], v[70:71], v[132:147]// 000000004E48: D3E00084 0E128DA2
	v_fma_f32 v99, v99, s56, -v51                              // 000000004E50: D1CB0063 84CC7163
	v_exp_f32_e32 v84, v84                                     // 000000004E58: 7EA84154
	v_exp_f32_e32 v85, v85                                     // 000000004E5C: 7EAA4155
	v_mfma_f32_32x32x8_bf16 v[132:147], a[164:165], v[72:73], v[132:147]// 000000004E60: D3E00084 0E1291A4
	buffer_load_dword v177, v33, s[16:19], s35 offen           // 000000004E68: E0501000 2304B121
	ds_read_b128 a[192:195], v37 offset:34944                  // 000000004E70: DBFE8880 C0000025
	ds_read_b128 a[196:199], v37 offset:36992                  // 000000004E78: DBFE9080 C4000025
	ds_read_b128 a[200:203], v37 offset:35200                  // 000000004E80: DBFE8980 C8000025
	ds_read_b128 a[204:207], v37 offset:37248                  // 000000004E88: DBFE9180 CC000025
	v_mfma_f32_32x32x8_bf16 v[132:147], a[166:167], v[74:75], v[132:147]// 000000004E90: D3E00084 0E1295A6
	v_exp_f32_e32 v86, v86                                     // 000000004E98: 7EAC4156
	v_exp_f32_e32 v87, v87                                     // 000000004E9C: 7EAE4157
	v_mfma_f32_32x32x8_bf16 v[148:163], a[168:169], v[68:69], v[148:163]// 000000004EA0: D3E00094 0E5289A8
	buffer_load_dword v178, v34, s[16:19], s35 offen           // 000000004EA8: E0501000 2304B222
	v_exp_f32_e32 v88, v88                                     // 000000004EB0: 7EB04158
	v_exp_f32_e32 v89, v89                                     // 000000004EB4: 7EB24159
	v_mfma_f32_32x32x8_bf16 v[148:163], a[170:171], v[70:71], v[148:163]// 000000004EB8: D3E00094 0E528DAA
	v_exp_f32_e32 v90, v90                                     // 000000004EC0: 7EB4415A
	v_exp_f32_e32 v91, v91                                     // 000000004EC4: 7EB6415B
	v_mfma_f32_32x32x8_bf16 v[148:163], a[172:173], v[72:73], v[148:163]// 000000004EC8: D3E00094 0E5291AC
	buffer_load_dword v179, v35, s[16:19], s35 offen           // 000000004ED0: E0501000 2304B323
	v_exp_f32_e32 v92, v92                                     // 000000004ED8: 7EB8415C
	v_exp_f32_e32 v93, v93                                     // 000000004EDC: 7EBA415D
	v_mfma_f32_32x32x8_bf16 v[148:163], a[174:175], v[74:75], v[148:163]// 000000004EE0: D3E00094 0E5295AE
	v_exp_f32_e32 v94, v94                                     // 000000004EE8: 7EBC415E
	s_add_i32 s35, s44, s35                                    // 000000004EEC: 8123232C
	s_add_i32 s52, s52, s53                                    // 000000004EF0: 81343534
	s_addk_i32 s39, 0x20                                       // 000000004EF4: B7270020
	s_cmp_lt_i32 s39, s38                                      // 000000004EF8: BF042627
	v_mov_b32_e32 v45, v44                                     // 000000004EFC: 7E5A032C
	v_mul_f32_e32 v128, v44, v128                              // 000000004F00: 0B01012C
	v_mul_f32_e32 v129, v44, v129                              // 000000004F04: 0B03032C
	v_pk_mul_f32 v[130:131], v[44:45], v[130:131]              // 000000004F08: D3B14082 1803052C
	v_pk_mul_f32 v[132:133], v[44:45], v[132:133]              // 000000004F10: D3B14084 1803092C
	v_pk_mul_f32 v[134:135], v[44:45], v[134:135]              // 000000004F18: D3B14086 18030D2C
	v_pk_mul_f32 v[136:137], v[44:45], v[136:137]              // 000000004F20: D3B14088 1803112C
	v_pk_mul_f32 v[138:139], v[44:45], v[138:139]              // 000000004F28: D3B1408A 1803152C
	v_pk_mul_f32 v[140:141], v[44:45], v[140:141]              // 000000004F30: D3B1408C 1803192C
	v_pk_mul_f32 v[142:143], v[44:45], v[142:143]              // 000000004F38: D3B1408E 18031D2C
	v_pk_mul_f32 v[144:145], v[44:45], v[144:145]              // 000000004F40: D3B14090 1803212C
	v_pk_mul_f32 v[146:147], v[44:45], v[146:147]              // 000000004F48: D3B14092 1803252C
	v_pk_mul_f32 v[148:149], v[44:45], v[148:149]              // 000000004F50: D3B14094 1803292C
	v_pk_mul_f32 v[150:151], v[44:45], v[150:151]              // 000000004F58: D3B14096 18032D2C
	v_pk_mul_f32 v[152:153], v[44:45], v[152:153]              // 000000004F60: D3B14098 1803312C
	v_pk_mul_f32 v[154:155], v[44:45], v[154:155]              // 000000004F68: D3B1409A 1803352C
	v_pk_mul_f32 v[156:157], v[44:45], v[156:157]              // 000000004F70: D3B1409C 1803392C
	v_pk_mul_f32 v[158:159], v[44:45], v[158:159]              // 000000004F78: D3B1409E 18033D2C
	v_pk_mul_f32 v[160:161], v[44:45], v[160:161]              // 000000004F80: D3B140A0 1803412C
	v_pk_mul_f32 v[162:163], v[44:45], v[162:163]              // 000000004F88: D3B140A2 1803452C
	s_cbranch_scc0 label_0E18                                  // 000000004F90: BF8406F3
	s_waitcnt vmcnt(8) lgkmcnt(8)                              // 000000004F94: BF8C0878
	s_barrier                                                  // 000000004F98: BF8A0000
	v_mfma_f32_32x32x8_bf16 v[68:83], a[48:49], a[0:1], 0      // 000000004F9C: D3E00044 1A020130
	s_mov_b32 m0, s68                                          // 000000004FA4: BEFC0044
	buffer_load_dword v16, s[12:15], s60 offen lds             // 000000004FA8: E0511000 3C030010
	ds_write_b128 v38, v[180:183] offset:26112                 // 000000004FB0: D9BE6600 0000B426
	v_mfma_f32_32x32x8_bf16 v[68:83], a[50:51], a[2:3], v[68:83]// 000000004FB8: D3E00044 1D120532
	v_exp_f32_e32 v95, v95                                     // 000000004FC0: 7EBE415F
	v_exp_f32_e32 v96, v96                                     // 000000004FC4: 7EC04160
	v_mfma_f32_32x32x8_bf16 v[68:83], a[52:53], a[4:5], v[68:83]// 000000004FC8: D3E00044 1D120934
	s_add_u32 m0, 0x440, m0                                    // 000000004FD0: 807C7CFF 00000440
	buffer_load_dword v17, s[12:15], s60 offen lds             // 000000004FD8: E0511000 3C030011
	ds_write_b128 v38, v[184:187] offset:30272                 // 000000004FE0: D9BE7640 0000B826
	v_mfma_f32_32x32x8_bf16 v[68:83], a[54:55], a[6:7], v[68:83]// 000000004FE8: D3E00044 1D120D36
	v_exp_f32_e32 v97, v97                                     // 000000004FF0: 7EC24161
	v_exp_f32_e32 v98, v98                                     // 000000004FF4: 7EC44162
	v_mfma_f32_32x32x8_bf16 v[68:83], a[56:57], a[8:9], v[68:83]// 000000004FF8: D3E00044 1D121138
	s_add_u32 m0, 0x440, m0                                    // 000000005000: 807C7CFF 00000440
	buffer_load_dword v18, s[12:15], s60 offen lds             // 000000005008: E0511000 3C030012
	ds_read_b128 a[96:99], v36 offset:13056                    // 000000005010: DBFE3300 60000024
	ds_read_b128 a[100:103], v36 offset:13088                  // 000000005018: DBFE3320 64000024
	v_exp_f32_e32 v99, v99                                     // 000000005020: 7EC64163
	v_mfma_f32_32x32x8_bf16 v[68:83], a[58:59], a[10:11], v[68:83]// 000000005024: D3E00044 1D12153A
	v_mul_f32_e32 v46, v44, v46                                // 00000000502C: 0A5C5D2C
	v_add_f32_e32 v62, v85, v84                                // 000000005030: 027CA955
	v_add_f32_e32 v62, v86, v62                                // 000000005034: 027C7D56
	v_add_f32_e32 v62, v87, v62                                // 000000005038: 027C7D57
	v_add_f32_e32 v62, v88, v62                                // 00000000503C: 027C7D58
	v_add_f32_e32 v62, v89, v62                                // 000000005040: 027C7D59
	v_add_f32_e32 v62, v90, v62                                // 000000005044: 027C7D5A
	v_mfma_f32_32x32x8_bf16 v[68:83], a[60:61], a[12:13], v[68:83]// 000000005048: D3E00044 1D12193C
	s_add_u32 m0, 0x440, m0                                    // 000000005050: 807C7CFF 00000440
	buffer_load_dword v19, s[12:15], s60 offen lds             // 000000005058: E0511000 3C030013
	ds_read_b128 a[104:107], v36 offset:13120                  // 000000005060: DBFE3340 68000024
	ds_read_b128 a[108:111], v36 offset:13152                  // 000000005068: DBFE3360 6C000024
	v_add_f32_e32 v62, v91, v62                                // 000000005070: 027C7D5B
	v_add_f32_e32 v62, v92, v62                                // 000000005074: 027C7D5C
	v_mfma_f32_32x32x8_bf16 v[68:83], a[62:63], a[14:15], v[68:83]// 000000005078: D3E00044 1D121D3E
	v_add_f32_e32 v62, v93, v62                                // 000000005080: 027C7D5D
	v_add_f32_e32 v62, v94, v62                                // 000000005084: 027C7D5E
	v_add_f32_e32 v62, v95, v62                                // 000000005088: 027C7D5F
	v_add_f32_e32 v62, v96, v62                                // 00000000508C: 027C7D60
	v_add_f32_e32 v62, v97, v62                                // 000000005090: 027C7D61
	v_add_f32_e32 v62, v98, v62                                // 000000005094: 027C7D62
	v_add_f32_e32 v62, v99, v62                                // 000000005098: 027C7D63
	v_mfma_f32_32x32x8_bf16 v[68:83], a[64:65], a[16:17], v[68:83]// 00000000509C: D3E00044 1D122140
	s_add_u32 m0, 0x440, m0                                    // 0000000050A4: 807C7CFF 00000440
	buffer_load_dword v20, s[12:15], s60 offen lds             // 0000000050AC: E0511000 3C030014
	ds_read_b128 a[112:115], v36 offset:17408                  // 0000000050B4: DBFE4400 70000024
	ds_read_b128 a[116:119], v36 offset:17440                  // 0000000050BC: DBFE4420 74000024
	v_add_f32_e32 v46, v62, v46                                // 0000000050C4: 025C5D3E
	v_mul_f32_e32 v100, v44, v100                              // 0000000050C8: 0AC8C92C
	v_mfma_f32_32x32x8_bf16 v[68:83], a[66:67], a[18:19], v[68:83]// 0000000050CC: D3E00044 1D122542
	v_mul_f32_e32 v101, v44, v101                              // 0000000050D4: 0ACACB2C
	v_mul_f32_e32 v102, v44, v102                              // 0000000050D8: 0ACCCD2C
	v_mul_f32_e32 v103, v44, v103                              // 0000000050DC: 0ACECF2C
	v_mul_f32_e32 v104, v44, v104                              // 0000000050E0: 0AD0D12C
	v_mul_f32_e32 v105, v44, v105                              // 0000000050E4: 0AD2D32C
	v_mul_f32_e32 v106, v44, v106                              // 0000000050E8: 0AD4D52C
	v_mul_f32_e32 v107, v44, v107                              // 0000000050EC: 0AD6D72C
	v_mfma_f32_32x32x8_bf16 v[68:83], a[68:69], a[20:21], v[68:83]// 0000000050F0: D3E00044 1D122944
	s_add_u32 m0, 0x440, m0                                    // 0000000050F8: 807C7CFF 00000440
	buffer_load_dword v21, s[12:15], s60 offen lds             // 000000005100: E0511000 3C030015
	ds_read_b128 a[120:123], v36 offset:17472                  // 000000005108: DBFE4440 78000024
	ds_read_b128 a[124:127], v36 offset:17504                  // 000000005110: DBFE4460 7C000024
	v_mul_f32_e32 v108, v44, v108                              // 000000005118: 0AD8D92C
	v_mul_f32_e32 v109, v44, v109                              // 00000000511C: 0ADADB2C
	v_mfma_f32_32x32x8_bf16 v[68:83], a[70:71], a[22:23], v[68:83]// 000000005120: D3E00044 1D122D46
	v_mul_f32_e32 v110, v44, v110                              // 000000005128: 0ADCDD2C
	v_mul_f32_e32 v111, v44, v111                              // 00000000512C: 0ADEDF2C
	v_mul_f32_e32 v112, v44, v112                              // 000000005130: 0AE0E12C
	v_mul_f32_e32 v113, v44, v113                              // 000000005134: 0AE2E32C
	v_mul_f32_e32 v114, v44, v114                              // 000000005138: 0AE4E52C
	v_mul_f32_e32 v115, v44, v115                              // 00000000513C: 0AE6E72C
	v_mul_f32_e32 v116, v44, v116                              // 000000005140: 0AE8E92C
	v_mfma_f32_32x32x8_bf16 v[68:83], a[72:73], a[24:25], v[68:83]// 000000005144: D3E00044 1D123148
	s_add_u32 m0, 0x440, m0                                    // 00000000514C: 807C7CFF 00000440
	buffer_load_dword v22, s[12:15], s60 offen lds             // 000000005154: E0511000 3C030016
	ds_read_b128 a[128:131], v36 offset:21760                  // 00000000515C: DBFE5500 80000024
	ds_read_b128 a[132:135], v36 offset:21792                  // 000000005164: DBFE5520 84000024
	v_mul_f32_e32 v117, v44, v117                              // 00000000516C: 0AEAEB2C
	v_mul_f32_e32 v118, v44, v118                              // 000000005170: 0AECED2C
	v_mfma_f32_32x32x8_bf16 v[68:83], a[74:75], a[26:27], v[68:83]// 000000005174: D3E00044 1D12354A
	v_mul_f32_e32 v119, v44, v119                              // 00000000517C: 0AEEEF2C
	v_mul_f32_e32 v120, v44, v120                              // 000000005180: 0AF0F12C
	v_mul_f32_e32 v121, v44, v121                              // 000000005184: 0AF2F32C
	v_mul_f32_e32 v122, v44, v122                              // 000000005188: 0AF4F52C
	v_mul_f32_e32 v123, v44, v123                              // 00000000518C: 0AF6F72C
	v_mul_f32_e32 v124, v44, v124                              // 000000005190: 0AF8F92C
	v_mul_f32_e32 v125, v44, v125                              // 000000005194: 0AFAFB2C
	v_mfma_f32_32x32x8_bf16 v[68:83], a[76:77], a[28:29], v[68:83]// 000000005198: D3E00044 1D12394C
	s_add_u32 m0, 0x440, m0                                    // 0000000051A0: 807C7CFF 00000440
	buffer_load_dword v23, s[12:15], s60 offen lds             // 0000000051A8: E0511000 3C030017
	ds_read_b128 a[136:139], v36 offset:21824                  // 0000000051B0: DBFE5540 88000024
	ds_read_b128 a[140:143], v36 offset:21856                  // 0000000051B8: DBFE5560 8C000024
	v_mul_f32_e32 v126, v44, v126                              // 0000000051C0: 0AFCFD2C
	v_mul_f32_e32 v127, v44, v127                              // 0000000051C4: 0AFEFF2C
	v_mfma_f32_32x32x8_bf16 v[68:83], a[78:79], a[30:31], v[68:83]// 0000000051C8: D3E00044 1D123D4E
	v_cmp_u_f32_e64 s[70:71], v84, v84                         // 0000000051D0: D0480046 0002A954
	v_bfe_u32 v64, v84, 16, 1                                  // 0000000051D8: D1C80040 02052154
	v_add3_u32 v64, v84, v64, v67                              // 0000000051E0: D1FF0040 050E8154
	v_cndmask_b32_e64 v40, v64, v66, s[70:71]                  // 0000000051E8: D1000028 011A8540
	v_lshrrev_b32_e32 v40, 16, v40                             // 0000000051F0: 20505090
	v_cmp_u_f32_e64 s[70:71], v85, v85                         // 0000000051F4: D0480046 0002AB55
	v_bfe_u32 v64, v85, 16, 1                                  // 0000000051FC: D1C80040 02052155
	v_add3_u32 v64, v85, v64, v67                              // 000000005204: D1FF0040 050E8155
	v_cndmask_b32_e64 v41, v64, v66, s[70:71]                  // 00000000520C: D1000029 011A8540
	v_and_or_b32 v84, v41, v65, v40                            // 000000005214: D2010054 04A28329
	v_mfma_f32_32x32x8_bf16 v[68:83], a[80:81], a[32:33], v[68:83]// 00000000521C: D3E00044 1D124150
	s_add_u32 m0, 0x440, m0                                    // 000000005224: 807C7CFF 00000440
	buffer_load_dword v24, s[12:15], s60 offen lds             // 00000000522C: E0511000 3C030018
	v_cmp_u_f32_e64 s[70:71], v86, v86                         // 000000005234: D0480046 0002AD56
	v_bfe_u32 v64, v86, 16, 1                                  // 00000000523C: D1C80040 02052156
	v_add3_u32 v64, v86, v64, v67                              // 000000005244: D1FF0040 050E8156
	v_cndmask_b32_e64 v40, v64, v66, s[70:71]                  // 00000000524C: D1000028 011A8540
	v_lshrrev_b32_e32 v40, 16, v40                             // 000000005254: 20505090
	v_cmp_u_f32_e64 s[70:71], v87, v87                         // 000000005258: D0480046 0002AF57
	v_bfe_u32 v64, v87, 16, 1                                  // 000000005260: D1C80040 02052157
	v_add3_u32 v64, v87, v64, v67                              // 000000005268: D1FF0040 050E8157
	v_cndmask_b32_e64 v41, v64, v66, s[70:71]                  // 000000005270: D1000029 011A8540
	v_and_or_b32 v85, v41, v65, v40                            // 000000005278: D2010055 04A28329
	v_mfma_f32_32x32x8_bf16 v[68:83], a[82:83], a[34:35], v[68:83]// 000000005280: D3E00044 1D124552
	v_cmp_u_f32_e64 s[70:71], v88, v88                         // 000000005288: D0480046 0002B158
	v_bfe_u32 v64, v88, 16, 1                                  // 000000005290: D1C80040 02052158
	v_add3_u32 v64, v88, v64, v67                              // 000000005298: D1FF0040 050E8158
	v_cndmask_b32_e64 v40, v64, v66, s[70:71]                  // 0000000052A0: D1000028 011A8540
	v_lshrrev_b32_e32 v40, 16, v40                             // 0000000052A8: 20505090
	v_cmp_u_f32_e64 s[70:71], v89, v89                         // 0000000052AC: D0480046 0002B359
	v_bfe_u32 v64, v89, 16, 1                                  // 0000000052B4: D1C80040 02052159
	v_add3_u32 v64, v89, v64, v67                              // 0000000052BC: D1FF0040 050E8159
	v_cndmask_b32_e64 v41, v64, v66, s[70:71]                  // 0000000052C4: D1000029 011A8540
	v_and_or_b32 v86, v41, v65, v40                            // 0000000052CC: D2010056 04A28329
	v_mfma_f32_32x32x8_bf16 v[68:83], a[84:85], a[36:37], v[68:83]// 0000000052D4: D3E00044 1D124954
	s_add_u32 m0, 0x440, m0                                    // 0000000052DC: 807C7CFF 00000440
	buffer_load_dword v25, s[12:15], s60 offen lds             // 0000000052E4: E0511000 3C030019
	v_cmp_u_f32_e64 s[70:71], v90, v90                         // 0000000052EC: D0480046 0002B55A
	v_bfe_u32 v64, v90, 16, 1                                  // 0000000052F4: D1C80040 0205215A
	v_add3_u32 v64, v90, v64, v67                              // 0000000052FC: D1FF0040 050E815A
	v_cndmask_b32_e64 v40, v64, v66, s[70:71]                  // 000000005304: D1000028 011A8540
	v_lshrrev_b32_e32 v40, 16, v40                             // 00000000530C: 20505090
	v_cmp_u_f32_e64 s[70:71], v91, v91                         // 000000005310: D0480046 0002B75B
	v_bfe_u32 v64, v91, 16, 1                                  // 000000005318: D1C80040 0205215B
	v_add3_u32 v64, v91, v64, v67                              // 000000005320: D1FF0040 050E815B
	v_cndmask_b32_e64 v41, v64, v66, s[70:71]                  // 000000005328: D1000029 011A8540
	v_and_or_b32 v87, v41, v65, v40                            // 000000005330: D2010057 04A28329
	v_mfma_f32_32x32x8_bf16 v[68:83], a[86:87], a[38:39], v[68:83]// 000000005338: D3E00044 1D124D56
	v_cmp_u_f32_e64 s[70:71], v92, v92                         // 000000005340: D0480046 0002B95C
	v_bfe_u32 v64, v92, 16, 1                                  // 000000005348: D1C80040 0205215C
	v_add3_u32 v64, v92, v64, v67                              // 000000005350: D1FF0040 050E815C
	v_cndmask_b32_e64 v40, v64, v66, s[70:71]                  // 000000005358: D1000028 011A8540
	v_lshrrev_b32_e32 v40, 16, v40                             // 000000005360: 20505090
	v_cmp_u_f32_e64 s[70:71], v93, v93                         // 000000005364: D0480046 0002BB5D
	v_bfe_u32 v64, v93, 16, 1                                  // 00000000536C: D1C80040 0205215D
	v_add3_u32 v64, v93, v64, v67                              // 000000005374: D1FF0040 050E815D
	v_cndmask_b32_e64 v41, v64, v66, s[70:71]                  // 00000000537C: D1000029 011A8540
	v_and_or_b32 v88, v41, v65, v40                            // 000000005384: D2010058 04A28329
	v_mfma_f32_32x32x8_bf16 v[68:83], a[88:89], a[40:41], v[68:83]// 00000000538C: D3E00044 1D125158
	s_add_u32 m0, 0x440, m0                                    // 000000005394: 807C7CFF 00000440
	buffer_load_dword v26, s[12:15], s60 offen lds             // 00000000539C: E0511000 3C03001A
	v_cmp_u_f32_e64 s[70:71], v94, v94                         // 0000000053A4: D0480046 0002BD5E
	v_bfe_u32 v64, v94, 16, 1                                  // 0000000053AC: D1C80040 0205215E
	v_add3_u32 v64, v94, v64, v67                              // 0000000053B4: D1FF0040 050E815E
	v_cndmask_b32_e64 v40, v64, v66, s[70:71]                  // 0000000053BC: D1000028 011A8540
	v_lshrrev_b32_e32 v40, 16, v40                             // 0000000053C4: 20505090
	v_cmp_u_f32_e64 s[70:71], v95, v95                         // 0000000053C8: D0480046 0002BF5F
	v_bfe_u32 v64, v95, 16, 1                                  // 0000000053D0: D1C80040 0205215F
	v_add3_u32 v64, v95, v64, v67                              // 0000000053D8: D1FF0040 050E815F
	v_cndmask_b32_e64 v41, v64, v66, s[70:71]                  // 0000000053E0: D1000029 011A8540
	v_and_or_b32 v89, v41, v65, v40                            // 0000000053E8: D2010059 04A28329
	v_mfma_f32_32x32x8_bf16 v[68:83], a[90:91], a[42:43], v[68:83]// 0000000053F0: D3E00044 1D12555A
	v_cmp_u_f32_e64 s[70:71], v96, v96                         // 0000000053F8: D0480046 0002C160
	v_bfe_u32 v64, v96, 16, 1                                  // 000000005400: D1C80040 02052160
	v_add3_u32 v64, v96, v64, v67                              // 000000005408: D1FF0040 050E8160
	v_cndmask_b32_e64 v40, v64, v66, s[70:71]                  // 000000005410: D1000028 011A8540
	v_lshrrev_b32_e32 v40, 16, v40                             // 000000005418: 20505090
	v_cmp_u_f32_e64 s[70:71], v97, v97                         // 00000000541C: D0480046 0002C361
	v_bfe_u32 v64, v97, 16, 1                                  // 000000005424: D1C80040 02052161
	v_add3_u32 v64, v97, v64, v67                              // 00000000542C: D1FF0040 050E8161
	v_cndmask_b32_e64 v41, v64, v66, s[70:71]                  // 000000005434: D1000029 011A8540
	v_and_or_b32 v90, v41, v65, v40                            // 00000000543C: D201005A 04A28329
	v_mfma_f32_32x32x8_bf16 v[68:83], a[92:93], a[44:45], v[68:83]// 000000005444: D3E00044 1D12595C
	s_add_u32 m0, 0x440, m0                                    // 00000000544C: 807C7CFF 00000440
	buffer_load_dword v27, s[12:15], s60 offen lds             // 000000005454: E0511000 3C03001B
	v_cmp_u_f32_e64 s[70:71], v98, v98                         // 00000000545C: D0480046 0002C562
	v_bfe_u32 v64, v98, 16, 1                                  // 000000005464: D1C80040 02052162
	v_add3_u32 v64, v98, v64, v67                              // 00000000546C: D1FF0040 050E8162
	v_cndmask_b32_e64 v40, v64, v66, s[70:71]                  // 000000005474: D1000028 011A8540
	v_lshrrev_b32_e32 v40, 16, v40                             // 00000000547C: 20505090
	v_cmp_u_f32_e64 s[70:71], v99, v99                         // 000000005480: D0480046 0002C763
	v_bfe_u32 v64, v99, 16, 1                                  // 000000005488: D1C80040 02052163
	v_add3_u32 v64, v99, v64, v67                              // 000000005490: D1FF0040 050E8163
	v_cndmask_b32_e64 v41, v64, v66, s[70:71]                  // 000000005498: D1000029 011A8540
	v_and_or_b32 v91, v41, v65, v40                            // 0000000054A0: D201005B 04A28329
	v_mfma_f32_32x32x8_bf16 v[68:83], a[94:95], a[46:47], v[68:83]// 0000000054A8: D3E00044 1D125D5E
	s_add_i32 s60, s43, s60                                    // 0000000054B0: 813C3C2B
	s_cmp_lt_i32 s52, s54                                      // 0000000054B4: BF043634
	s_cbranch_scc1 label_08B2                                  // 0000000054B8: BF850043
	s_sub_i32 s40, s7, s52                                     // 0000000054BC: 81A83407
	v_sub_i32 v40, s40, v54                                    // 0000000054C0: D29D0028 00026C28
	v_cmp_lt_i32_e64 s[72:73], 0, v40                          // 0000000054C8: D0C10048 00025080
	v_cmp_lt_i32_e64 s[74:75], 1, v40                          // 0000000054D0: D0C1004A 00025081
	v_cndmask_b32_e64 v68, v55, v68, s[72:73]                  // 0000000054D8: D1000044 01228937
	v_cndmask_b32_e64 v69, v55, v69, s[74:75]                  // 0000000054E0: D1000045 012A8B37
	v_cmp_lt_i32_e64 s[72:73], 2, v40                          // 0000000054E8: D0C10048 00025082
	v_cmp_lt_i32_e64 s[74:75], 3, v40                          // 0000000054F0: D0C1004A 00025083
	v_cndmask_b32_e64 v70, v55, v70, s[72:73]                  // 0000000054F8: D1000046 01228D37
	v_cndmask_b32_e64 v71, v55, v71, s[74:75]                  // 000000005500: D1000047 012A8F37
	v_cmp_lt_i32_e64 s[72:73], 8, v40                          // 000000005508: D0C10048 00025088
	v_cmp_lt_i32_e64 s[74:75], 9, v40                          // 000000005510: D0C1004A 00025089
	v_cndmask_b32_e64 v72, v55, v72, s[72:73]                  // 000000005518: D1000048 01229137
	v_cndmask_b32_e64 v73, v55, v73, s[74:75]                  // 000000005520: D1000049 012A9337
	v_cmp_lt_i32_e64 s[72:73], 10, v40                         // 000000005528: D0C10048 0002508A
	v_cmp_lt_i32_e64 s[74:75], 11, v40                         // 000000005530: D0C1004A 0002508B
	v_cndmask_b32_e64 v74, v55, v74, s[72:73]                  // 000000005538: D100004A 01229537
	v_cndmask_b32_e64 v75, v55, v75, s[74:75]                  // 000000005540: D100004B 012A9737
	v_cmp_lt_i32_e64 s[72:73], 16, v40                         // 000000005548: D0C10048 00025090
	v_cmp_lt_i32_e64 s[74:75], 17, v40                         // 000000005550: D0C1004A 00025091
	v_cndmask_b32_e64 v76, v55, v76, s[72:73]                  // 000000005558: D100004C 01229937
	v_cndmask_b32_e64 v77, v55, v77, s[74:75]                  // 000000005560: D100004D 012A9B37
	v_cmp_lt_i32_e64 s[72:73], 18, v40                         // 000000005568: D0C10048 00025092
	v_cmp_lt_i32_e64 s[74:75], 19, v40                         // 000000005570: D0C1004A 00025093
	v_cndmask_b32_e64 v78, v55, v78, s[72:73]                  // 000000005578: D100004E 01229D37
	v_cndmask_b32_e64 v79, v55, v79, s[74:75]                  // 000000005580: D100004F 012A9F37
	v_cmp_lt_i32_e64 s[72:73], 24, v40                         // 000000005588: D0C10048 00025098
	v_cmp_lt_i32_e64 s[74:75], 25, v40                         // 000000005590: D0C1004A 00025099
	v_cndmask_b32_e64 v80, v55, v80, s[72:73]                  // 000000005598: D1000050 0122A137
	v_cndmask_b32_e64 v81, v55, v81, s[74:75]                  // 0000000055A0: D1000051 012AA337
	v_cmp_lt_i32_e64 s[72:73], 26, v40                         // 0000000055A8: D0C10048 0002509A
	v_cmp_lt_i32_e64 s[74:75], 27, v40                         // 0000000055B0: D0C1004A 0002509B
	v_cndmask_b32_e64 v82, v55, v82, s[72:73]                  // 0000000055B8: D1000052 0122A537
	v_cndmask_b32_e64 v83, v55, v83, s[74:75]                  // 0000000055C0: D1000053 012AA737

00000000000055c8 <label_08B2>:
	s_waitcnt vmcnt(12) lgkmcnt(12)                            // 0000000055C8: BF8C0C7C
	s_barrier                                                  // 0000000055CC: BF8A0000
	v_mfma_f32_32x32x8_bf16 v[100:115], a[176:177], v[84:85], v[100:115]// 0000000055D0: D3E00064 0D92A9B0
	buffer_load_dword v164, v28, s[16:19], s35 offen           // 0000000055D8: E0501000 2304A41C
	v_max3_f32 v49, v68, v69, v52                              // 0000000055E0: D1D30031 04D28B44
	v_max3_f32 v49, v70, v71, v49                              // 0000000055E8: D1D30031 04C68F46
	v_max3_f32 v49, v72, v73, v49                              // 0000000055F0: D1D30031 04C69348
	v_max3_f32 v49, v74, v75, v49                              // 0000000055F8: D1D30031 04C6974A
	v_max3_f32 v49, v76, v77, v49                              // 000000005600: D1D30031 04C69B4C
	v_max3_f32 v49, v78, v79, v49                              // 000000005608: D1D30031 04C69F4E
	v_mfma_f32_32x32x8_bf16 v[100:115], a[178:179], v[86:87], v[100:115]// 000000005610: D3E00064 0D92ADB2
	v_max3_f32 v49, v80, v81, v49                              // 000000005618: D1D30031 04C6A350
	v_max3_f32 v49, v82, v83, v49                              // 000000005620: D1D30031 04C6A752
	ds_permute_b32 v48, v56, v49                               // 000000005628: D87C0000 30003138
	v_mfma_f32_32x32x8_bf16 v[100:115], a[180:181], v[88:89], v[100:115]// 000000005630: D3E00064 0D92B1B4
	buffer_load_dword v165, v29, s[16:19], s35 offen           // 000000005638: E0501000 2304A51D
	v_perm_b32 v188, v173, v172, s50                           // 000000005640: D1ED00BC 00CB59AD
	v_perm_b32 v192, v173, v172, s49                           // 000000005648: D1ED00C0 00C759AD
	v_perm_b32 v189, v175, v174, s50                           // 000000005650: D1ED00BD 00CB5DAF
	v_perm_b32 v193, v175, v174, s49                           // 000000005658: D1ED00C1 00C75DAF
	v_nop                                                      // 000000005660: 7E000000
	s_nop 0                                                    // 000000005664: BF800000
	v_mfma_f32_32x32x8_bf16 v[100:115], a[182:183], v[90:91], v[100:115]// 000000005668: D3E00064 0D92B5B6
	v_perm_b32 v190, v177, v176, s50                           // 000000005670: D1ED00BE 00CB61B1
	v_perm_b32 v194, v177, v176, s49                           // 000000005678: D1ED00C2 00C761B1
	v_perm_b32 v191, v179, v178, s50                           // 000000005680: D1ED00BF 00CB65B3
	v_perm_b32 v195, v179, v178, s49                           // 000000005688: D1ED00C3 00C765B3
	v_nop                                                      // 000000005690: 7E000000
	v_mfma_f32_32x32x8_bf16 v[116:131], a[184:185], v[84:85], v[116:131]// 000000005694: D3E00074 0DD2A9B8
	buffer_load_dword v166, v30, s[16:19], s35 offen           // 00000000569C: E0501000 2304A61E
	s_waitcnt lgkmcnt(0)                                       // 0000000056A4: BF8CC07F
	v_max_f32_e32 v49, v48, v49                                // 0000000056A8: 16626330
	v_sub_f32_e32 v44, v52, v49                                // 0000000056AC: 04586334
	v_mov_b32_e32 v52, v49                                     // 0000000056B0: 7E680331
	v_mul_f32_e32 v51, s56, v49                                // 0000000056B4: 0A666238
	v_mfma_f32_32x32x8_bf16 v[116:131], a[186:187], v[86:87], v[116:131]// 0000000056B8: D3E00074 0DD2ADBA
	v_mul_f32_e32 v44, s56, v44                                // 0000000056C0: 0A585838
	v_exp_f32_e32 v44, v44                                     // 0000000056C4: 7E58412C
	v_fma_f32 v68, v68, s56, -v51                              // 0000000056C8: D1CB0044 84CC7144
	v_fma_f32 v69, v69, s56, -v51                              // 0000000056D0: D1CB0045 84CC7145
	v_mfma_f32_32x32x8_bf16 v[116:131], a[188:189], v[88:89], v[116:131]// 0000000056D8: D3E00074 0DD2B1BC
	buffer_load_dword v167, v31, s[16:19], s35 offen           // 0000000056E0: E0501000 2304A71F
	ds_read_b128 a[144:147], v37 offset:26112                  // 0000000056E8: DBFE6600 90000025
	ds_read_b128 a[148:151], v37 offset:28160                  // 0000000056F0: DBFE6E00 94000025
	ds_read_b128 a[152:155], v37 offset:26368                  // 0000000056F8: DBFE6700 98000025
	ds_read_b128 a[156:159], v37 offset:28416                  // 000000005700: DBFE6F00 9C000025
	v_mfma_f32_32x32x8_bf16 v[116:131], a[190:191], v[90:91], v[116:131]// 000000005708: D3E00074 0DD2B5BE
	v_fma_f32 v70, v70, s56, -v51                              // 000000005710: D1CB0046 84CC7146
	v_fma_f32 v71, v71, s56, -v51                              // 000000005718: D1CB0047 84CC7147
	v_fma_f32 v72, v72, s56, -v51                              // 000000005720: D1CB0048 84CC7148
	v_fma_f32 v73, v73, s56, -v51                              // 000000005728: D1CB0049 84CC7149
	v_fma_f32 v74, v74, s56, -v51                              // 000000005730: D1CB004A 84CC714A
	v_fma_f32 v75, v75, s56, -v51                              // 000000005738: D1CB004B 84CC714B
	v_fma_f32 v76, v76, s56, -v51                              // 000000005740: D1CB004C 84CC714C
	v_mfma_f32_32x32x8_bf16 v[132:147], a[192:193], v[84:85], v[132:147]// 000000005748: D3E00084 0E12A9C0
	buffer_load_dword v168, v32, s[16:19], s35 offen           // 000000005750: E0501000 2304A820
	v_fma_f32 v77, v77, s56, -v51                              // 000000005758: D1CB004D 84CC714D
	v_fma_f32 v78, v78, s56, -v51                              // 000000005760: D1CB004E 84CC714E
	v_fma_f32 v79, v79, s56, -v51                              // 000000005768: D1CB004F 84CC714F
	v_fma_f32 v80, v80, s56, -v51                              // 000000005770: D1CB0050 84CC7150
	v_fma_f32 v81, v81, s56, -v51                              // 000000005778: D1CB0051 84CC7151
	v_fma_f32 v82, v82, s56, -v51                              // 000000005780: D1CB0052 84CC7152
	v_mfma_f32_32x32x8_bf16 v[132:147], a[194:195], v[86:87], v[132:147]// 000000005788: D3E00084 0E12ADC2
	v_fma_f32 v83, v83, s56, -v51                              // 000000005790: D1CB0053 84CC7153
	v_exp_f32_e32 v68, v68                                     // 000000005798: 7E884144
	v_exp_f32_e32 v69, v69                                     // 00000000579C: 7E8A4145
	v_mfma_f32_32x32x8_bf16 v[132:147], a[196:197], v[88:89], v[132:147]// 0000000057A0: D3E00084 0E12B1C4
	buffer_load_dword v169, v33, s[16:19], s35 offen           // 0000000057A8: E0501000 2304A921
	ds_read_b128 a[160:163], v37 offset:26624                  // 0000000057B0: DBFE6800 A0000025
	ds_read_b128 a[164:167], v37 offset:28672                  // 0000000057B8: DBFE7000 A4000025
	ds_read_b128 a[168:171], v37 offset:26880                  // 0000000057C0: DBFE6900 A8000025
	ds_read_b128 a[172:175], v37 offset:28928                  // 0000000057C8: DBFE7100 AC000025
	v_mfma_f32_32x32x8_bf16 v[132:147], a[198:199], v[90:91], v[132:147]// 0000000057D0: D3E00084 0E12B5C6
	v_exp_f32_e32 v70, v70                                     // 0000000057D8: 7E8C4146
	v_exp_f32_e32 v71, v71                                     // 0000000057DC: 7E8E4147
	v_mfma_f32_32x32x8_bf16 v[148:163], a[200:201], v[84:85], v[148:163]// 0000000057E0: D3E00094 0E52A9C8
	buffer_load_dword v170, v34, s[16:19], s35 offen           // 0000000057E8: E0501000 2304AA22
	v_exp_f32_e32 v72, v72                                     // 0000000057F0: 7E904148
	v_exp_f32_e32 v73, v73                                     // 0000000057F4: 7E924149
	v_mfma_f32_32x32x8_bf16 v[148:163], a[202:203], v[86:87], v[148:163]// 0000000057F8: D3E00094 0E52ADCA
	v_exp_f32_e32 v74, v74                                     // 000000005800: 7E94414A
	v_exp_f32_e32 v75, v75                                     // 000000005804: 7E96414B
	v_mfma_f32_32x32x8_bf16 v[148:163], a[204:205], v[88:89], v[148:163]// 000000005808: D3E00094 0E52B1CC
	buffer_load_dword v171, v35, s[16:19], s35 offen           // 000000005810: E0501000 2304AB23
	v_exp_f32_e32 v76, v76                                     // 000000005818: 7E98414C
	v_exp_f32_e32 v77, v77                                     // 00000000581C: 7E9A414D
	v_mfma_f32_32x32x8_bf16 v[148:163], a[206:207], v[90:91], v[148:163]// 000000005820: D3E00094 0E52B5CE
	v_exp_f32_e32 v78, v78                                     // 000000005828: 7E9C414E
	s_add_i32 s35, s44, s35                                    // 00000000582C: 8123232C
	s_add_i32 s52, s52, s53                                    // 000000005830: 81343534
	s_addk_i32 s39, 0x20                                       // 000000005834: B7270020
	s_cmp_lt_i32 s39, s38                                      // 000000005838: BF042627
	v_mov_b32_e32 v45, v44                                     // 00000000583C: 7E5A032C
	v_mul_f32_e32 v128, v44, v128                              // 000000005840: 0B01012C
	v_mul_f32_e32 v129, v44, v129                              // 000000005844: 0B03032C
	v_pk_mul_f32 v[130:131], v[44:45], v[130:131]              // 000000005848: D3B14082 1803052C
	v_pk_mul_f32 v[132:133], v[44:45], v[132:133]              // 000000005850: D3B14084 1803092C
	v_pk_mul_f32 v[134:135], v[44:45], v[134:135]              // 000000005858: D3B14086 18030D2C
	v_pk_mul_f32 v[136:137], v[44:45], v[136:137]              // 000000005860: D3B14088 1803112C
	v_pk_mul_f32 v[138:139], v[44:45], v[138:139]              // 000000005868: D3B1408A 1803152C
	v_pk_mul_f32 v[140:141], v[44:45], v[140:141]              // 000000005870: D3B1408C 1803192C
	v_pk_mul_f32 v[142:143], v[44:45], v[142:143]              // 000000005878: D3B1408E 18031D2C
	v_pk_mul_f32 v[144:145], v[44:45], v[144:145]              // 000000005880: D3B14090 1803212C
	v_pk_mul_f32 v[146:147], v[44:45], v[146:147]              // 000000005888: D3B14092 1803252C
	v_pk_mul_f32 v[148:149], v[44:45], v[148:149]              // 000000005890: D3B14094 1803292C
	v_pk_mul_f32 v[150:151], v[44:45], v[150:151]              // 000000005898: D3B14096 18032D2C
	v_pk_mul_f32 v[152:153], v[44:45], v[152:153]              // 0000000058A0: D3B14098 1803312C
	v_pk_mul_f32 v[154:155], v[44:45], v[154:155]              // 0000000058A8: D3B1409A 1803352C
	v_pk_mul_f32 v[156:157], v[44:45], v[156:157]              // 0000000058B0: D3B1409C 1803392C
	v_pk_mul_f32 v[158:159], v[44:45], v[158:159]              // 0000000058B8: D3B1409E 18033D2C
	v_pk_mul_f32 v[160:161], v[44:45], v[160:161]              // 0000000058C0: D3B140A0 1803412C
	v_pk_mul_f32 v[162:163], v[44:45], v[162:163]              // 0000000058C8: D3B140A2 1803452C
	s_cbranch_scc0 label_0E18                                  // 0000000058D0: BF8404A3
	s_branch label_04D5                                        // 0000000058D4: BF82FB5F

00000000000058d8 <label_0976>:
	s_nop 0                                                    // 0000000058D8: BF800000

00000000000058dc <label_0977>:
	s_waitcnt vmcnt(8) lgkmcnt(8)                              // 0000000058DC: BF8C0878
	s_barrier                                                  // 0000000058E0: BF8A0000
	v_mfma_f32_32x32x8_bf16 v[84:99], a[96:97], a[0:1], 0      // 0000000058E4: D3E00054 1A020160
	v_exp_f32_e32 v79, v79                                     // 0000000058EC: 7E9E414F
	v_exp_f32_e32 v80, v80                                     // 0000000058F0: 7EA04150
	v_mfma_f32_32x32x8_bf16 v[84:99], a[98:99], a[2:3], v[84:99]// 0000000058F4: D3E00054 1D520562
	s_mov_b32 m0, s69                                          // 0000000058FC: BEFC0045
	buffer_load_dword v16, s[12:15], s60 offen lds             // 000000005900: E0511000 3C030010
	ds_write_b128 v38, v[188:191] offset:34432                 // 000000005908: D9BE8680 0000BC26
	v_mfma_f32_32x32x8_bf16 v[84:99], a[100:101], a[4:5], v[84:99]// 000000005910: D3E00054 1D520964
	v_exp_f32_e32 v81, v81                                     // 000000005918: 7EA24151
	v_exp_f32_e32 v82, v82                                     // 00000000591C: 7EA44152
	v_mfma_f32_32x32x8_bf16 v[84:99], a[102:103], a[6:7], v[84:99]// 000000005920: D3E00054 1D520D66
	s_add_u32 m0, 0x440, m0                                    // 000000005928: 807C7CFF 00000440
	buffer_load_dword v17, s[12:15], s60 offen lds             // 000000005930: E0511000 3C030011
	ds_write_b128 v38, v[192:195] offset:38592                 // 000000005938: D9BE96C0 0000C026
	v_mfma_f32_32x32x8_bf16 v[84:99], a[104:105], a[8:9], v[84:99]// 000000005940: D3E00054 1D521168
	v_exp_f32_e32 v83, v83                                     // 000000005948: 7EA64153
	v_mul_f32_e32 v46, v44, v46                                // 00000000594C: 0A5C5D2C
	v_add_f32_e32 v62, v69, v68                                // 000000005950: 027C8945
	v_add_f32_e32 v62, v70, v62                                // 000000005954: 027C7D46
	v_mfma_f32_32x32x8_bf16 v[84:99], a[106:107], a[10:11], v[84:99]// 000000005958: D3E00054 1D52156A
	s_add_u32 m0, 0x440, m0                                    // 000000005960: 807C7CFF 00000440
	buffer_load_dword v18, s[12:15], s60 offen lds             // 000000005968: E0511000 3C030012
	ds_read_b128 a[48:51], v36                                 // 000000005970: DBFE0000 30000024
	ds_read_b128 a[52:55], v36 offset:32                       // 000000005978: DBFE0020 34000024
	v_add_f32_e32 v62, v71, v62                                // 000000005980: 027C7D47
	v_add_f32_e32 v62, v72, v62                                // 000000005984: 027C7D48
	v_mfma_f32_32x32x8_bf16 v[84:99], a[108:109], a[12:13], v[84:99]// 000000005988: D3E00054 1D52196C
	v_add_f32_e32 v62, v73, v62                                // 000000005990: 027C7D49
	v_add_f32_e32 v62, v74, v62                                // 000000005994: 027C7D4A
	v_add_f32_e32 v62, v75, v62                                // 000000005998: 027C7D4B
	v_add_f32_e32 v62, v76, v62                                // 00000000599C: 027C7D4C
	v_add_f32_e32 v62, v77, v62                                // 0000000059A0: 027C7D4D
	v_add_f32_e32 v62, v78, v62                                // 0000000059A4: 027C7D4E
	v_add_f32_e32 v62, v79, v62                                // 0000000059A8: 027C7D4F
	v_mfma_f32_32x32x8_bf16 v[84:99], a[110:111], a[14:15], v[84:99]// 0000000059AC: D3E00054 1D521D6E
	s_add_u32 m0, 0x440, m0                                    // 0000000059B4: 807C7CFF 00000440
	buffer_load_dword v19, s[12:15], s60 offen lds             // 0000000059BC: E0511000 3C030013
	ds_read_b128 a[56:59], v36 offset:64                       // 0000000059C4: DBFE0040 38000024
	ds_read_b128 a[60:63], v36 offset:96                       // 0000000059CC: DBFE0060 3C000024
	v_add_f32_e32 v62, v80, v62                                // 0000000059D4: 027C7D50
	v_add_f32_e32 v62, v81, v62                                // 0000000059D8: 027C7D51
	v_mfma_f32_32x32x8_bf16 v[84:99], a[112:113], a[16:17], v[84:99]// 0000000059DC: D3E00054 1D522170
	v_add_f32_e32 v62, v82, v62                                // 0000000059E4: 027C7D52
	v_add_f32_e32 v62, v83, v62                                // 0000000059E8: 027C7D53
	v_add_f32_e32 v46, v62, v46                                // 0000000059EC: 025C5D3E
	v_mul_f32_e32 v100, v44, v100                              // 0000000059F0: 0AC8C92C
	v_mul_f32_e32 v101, v44, v101                              // 0000000059F4: 0ACACB2C
	v_mul_f32_e32 v102, v44, v102                              // 0000000059F8: 0ACCCD2C
	v_mul_f32_e32 v103, v44, v103                              // 0000000059FC: 0ACECF2C
	v_mfma_f32_32x32x8_bf16 v[84:99], a[114:115], a[18:19], v[84:99]// 000000005A00: D3E00054 1D522572
	s_add_u32 m0, 0x440, m0                                    // 000000005A08: 807C7CFF 00000440
	buffer_load_dword v20, s[12:15], s60 offen lds             // 000000005A10: E0511000 3C030014
	ds_read_b128 a[64:67], v36 offset:4352                     // 000000005A18: DBFE1100 40000024
	ds_read_b128 a[68:71], v36 offset:4384                     // 000000005A20: DBFE1120 44000024
	v_mul_f32_e32 v104, v44, v104                              // 000000005A28: 0AD0D12C
	v_mul_f32_e32 v105, v44, v105                              // 000000005A2C: 0AD2D32C
	v_mfma_f32_32x32x8_bf16 v[84:99], a[116:117], a[20:21], v[84:99]// 000000005A30: D3E00054 1D522974
	v_mul_f32_e32 v106, v44, v106                              // 000000005A38: 0AD4D52C
	v_mul_f32_e32 v107, v44, v107                              // 000000005A3C: 0AD6D72C
	v_mul_f32_e32 v108, v44, v108                              // 000000005A40: 0AD8D92C
	v_mul_f32_e32 v109, v44, v109                              // 000000005A44: 0ADADB2C
	v_mul_f32_e32 v110, v44, v110                              // 000000005A48: 0ADCDD2C
	v_mul_f32_e32 v111, v44, v111                              // 000000005A4C: 0ADEDF2C
	v_mul_f32_e32 v112, v44, v112                              // 000000005A50: 0AE0E12C
	v_mfma_f32_32x32x8_bf16 v[84:99], a[118:119], a[22:23], v[84:99]// 000000005A54: D3E00054 1D522D76
	s_add_u32 m0, 0x440, m0                                    // 000000005A5C: 807C7CFF 00000440
	buffer_load_dword v21, s[12:15], s60 offen lds             // 000000005A64: E0511000 3C030015
	ds_read_b128 a[72:75], v36 offset:4416                     // 000000005A6C: DBFE1140 48000024
	ds_read_b128 a[76:79], v36 offset:4448                     // 000000005A74: DBFE1160 4C000024
	v_mul_f32_e32 v113, v44, v113                              // 000000005A7C: 0AE2E32C
	v_mul_f32_e32 v114, v44, v114                              // 000000005A80: 0AE4E52C
	v_mfma_f32_32x32x8_bf16 v[84:99], a[120:121], a[24:25], v[84:99]// 000000005A84: D3E00054 1D523178
	v_mul_f32_e32 v115, v44, v115                              // 000000005A8C: 0AE6E72C
	v_mul_f32_e32 v116, v44, v116                              // 000000005A90: 0AE8E92C
	v_mul_f32_e32 v117, v44, v117                              // 000000005A94: 0AEAEB2C
	v_mul_f32_e32 v118, v44, v118                              // 000000005A98: 0AECED2C
	v_mul_f32_e32 v119, v44, v119                              // 000000005A9C: 0AEEEF2C
	v_mul_f32_e32 v120, v44, v120                              // 000000005AA0: 0AF0F12C
	v_mul_f32_e32 v121, v44, v121                              // 000000005AA4: 0AF2F32C
	v_mfma_f32_32x32x8_bf16 v[84:99], a[122:123], a[26:27], v[84:99]// 000000005AA8: D3E00054 1D52357A
	s_add_u32 m0, 0x440, m0                                    // 000000005AB0: 807C7CFF 00000440
	buffer_load_dword v22, s[12:15], s60 offen lds             // 000000005AB8: E0511000 3C030016
	ds_read_b128 a[80:83], v36 offset:8704                     // 000000005AC0: DBFE2200 50000024
	ds_read_b128 a[84:87], v36 offset:8736                     // 000000005AC8: DBFE2220 54000024
	v_mul_f32_e32 v122, v44, v122                              // 000000005AD0: 0AF4F52C
	v_mul_f32_e32 v123, v44, v123                              // 000000005AD4: 0AF6F72C
	v_mfma_f32_32x32x8_bf16 v[84:99], a[124:125], a[28:29], v[84:99]// 000000005AD8: D3E00054 1D52397C
	v_mul_f32_e32 v124, v44, v124                              // 000000005AE0: 0AF8F92C
	v_mul_f32_e32 v125, v44, v125                              // 000000005AE4: 0AFAFB2C
	v_mul_f32_e32 v126, v44, v126                              // 000000005AE8: 0AFCFD2C
	v_mul_f32_e32 v127, v44, v127                              // 000000005AEC: 0AFEFF2C
	v_mfma_f32_32x32x8_bf16 v[84:99], a[126:127], a[30:31], v[84:99]// 000000005AF0: D3E00054 1D523D7E
	s_add_u32 m0, 0x440, m0                                    // 000000005AF8: 807C7CFF 00000440
	buffer_load_dword v23, s[12:15], s60 offen lds             // 000000005B00: E0511000 3C030017
	ds_read_b128 a[88:91], v36 offset:8768                     // 000000005B08: DBFE2240 58000024
	ds_read_b128 a[92:95], v36 offset:8800                     // 000000005B10: DBFE2260 5C000024
	v_cmp_u_f32_e64 s[70:71], v68, v68                         // 000000005B18: D0480046 00028944
	v_bfe_u32 v64, v68, 16, 1                                  // 000000005B20: D1C80040 02052144
	v_add3_u32 v64, v68, v64, v67                              // 000000005B28: D1FF0040 050E8144
	v_cndmask_b32_e64 v40, v64, v66, s[70:71]                  // 000000005B30: D1000028 011A8540
	v_lshrrev_b32_e32 v40, 16, v40                             // 000000005B38: 20505090
	v_cmp_u_f32_e64 s[70:71], v69, v69                         // 000000005B3C: D0480046 00028B45
	v_bfe_u32 v64, v69, 16, 1                                  // 000000005B44: D1C80040 02052145
	v_add3_u32 v64, v69, v64, v67                              // 000000005B4C: D1FF0040 050E8145
	v_cndmask_b32_e64 v41, v64, v66, s[70:71]                  // 000000005B54: D1000029 011A8540
	v_and_or_b32 v68, v41, v65, v40                            // 000000005B5C: D2010044 04A28329
	v_mfma_f32_32x32x8_bf16 v[84:99], a[128:129], a[32:33], v[84:99]// 000000005B64: D3E00054 1D524180
	v_cmp_u_f32_e64 s[70:71], v70, v70                         // 000000005B6C: D0480046 00028D46
	v_bfe_u32 v64, v70, 16, 1                                  // 000000005B74: D1C80040 02052146
	v_add3_u32 v64, v70, v64, v67                              // 000000005B7C: D1FF0040 050E8146
	v_cndmask_b32_e64 v40, v64, v66, s[70:71]                  // 000000005B84: D1000028 011A8540
	v_lshrrev_b32_e32 v40, 16, v40                             // 000000005B8C: 20505090
	v_cmp_u_f32_e64 s[70:71], v71, v71                         // 000000005B90: D0480046 00028F47
	v_bfe_u32 v64, v71, 16, 1                                  // 000000005B98: D1C80040 02052147
	v_add3_u32 v64, v71, v64, v67                              // 000000005BA0: D1FF0040 050E8147
	v_cndmask_b32_e64 v41, v64, v66, s[70:71]                  // 000000005BA8: D1000029 011A8540
	v_and_or_b32 v69, v41, v65, v40                            // 000000005BB0: D2010045 04A28329
	v_mfma_f32_32x32x8_bf16 v[84:99], a[130:131], a[34:35], v[84:99]// 000000005BB8: D3E00054 1D524582
	s_add_u32 m0, 0x440, m0                                    // 000000005BC0: 807C7CFF 00000440
	buffer_load_dword v24, s[12:15], s60 offen lds             // 000000005BC8: E0511000 3C030018
	v_cmp_u_f32_e64 s[70:71], v72, v72                         // 000000005BD0: D0480046 00029148
	v_bfe_u32 v64, v72, 16, 1                                  // 000000005BD8: D1C80040 02052148
	v_add3_u32 v64, v72, v64, v67                              // 000000005BE0: D1FF0040 050E8148
	v_cndmask_b32_e64 v40, v64, v66, s[70:71]                  // 000000005BE8: D1000028 011A8540
	v_lshrrev_b32_e32 v40, 16, v40                             // 000000005BF0: 20505090
	v_cmp_u_f32_e64 s[70:71], v73, v73                         // 000000005BF4: D0480046 00029349
	v_bfe_u32 v64, v73, 16, 1                                  // 000000005BFC: D1C80040 02052149
	v_add3_u32 v64, v73, v64, v67                              // 000000005C04: D1FF0040 050E8149
	v_cndmask_b32_e64 v41, v64, v66, s[70:71]                  // 000000005C0C: D1000029 011A8540
	v_and_or_b32 v70, v41, v65, v40                            // 000000005C14: D2010046 04A28329
	v_mfma_f32_32x32x8_bf16 v[84:99], a[132:133], a[36:37], v[84:99]// 000000005C1C: D3E00054 1D524984
	v_cmp_u_f32_e64 s[70:71], v74, v74                         // 000000005C24: D0480046 0002954A
	v_bfe_u32 v64, v74, 16, 1                                  // 000000005C2C: D1C80040 0205214A
	v_add3_u32 v64, v74, v64, v67                              // 000000005C34: D1FF0040 050E814A
	v_cndmask_b32_e64 v40, v64, v66, s[70:71]                  // 000000005C3C: D1000028 011A8540
	v_lshrrev_b32_e32 v40, 16, v40                             // 000000005C44: 20505090
	v_cmp_u_f32_e64 s[70:71], v75, v75                         // 000000005C48: D0480046 0002974B
	v_bfe_u32 v64, v75, 16, 1                                  // 000000005C50: D1C80040 0205214B
	v_add3_u32 v64, v75, v64, v67                              // 000000005C58: D1FF0040 050E814B
	v_cndmask_b32_e64 v41, v64, v66, s[70:71]                  // 000000005C60: D1000029 011A8540
	v_and_or_b32 v71, v41, v65, v40                            // 000000005C68: D2010047 04A28329
	v_mfma_f32_32x32x8_bf16 v[84:99], a[134:135], a[38:39], v[84:99]// 000000005C70: D3E00054 1D524D86
	s_add_u32 m0, 0x440, m0                                    // 000000005C78: 807C7CFF 00000440
	buffer_load_dword v25, s[12:15], s60 offen lds             // 000000005C80: E0511000 3C030019
	v_cmp_u_f32_e64 s[70:71], v76, v76                         // 000000005C88: D0480046 0002994C
	v_bfe_u32 v64, v76, 16, 1                                  // 000000005C90: D1C80040 0205214C
	v_add3_u32 v64, v76, v64, v67                              // 000000005C98: D1FF0040 050E814C
	v_cndmask_b32_e64 v40, v64, v66, s[70:71]                  // 000000005CA0: D1000028 011A8540
	v_lshrrev_b32_e32 v40, 16, v40                             // 000000005CA8: 20505090
	v_cmp_u_f32_e64 s[70:71], v77, v77                         // 000000005CAC: D0480046 00029B4D
	v_bfe_u32 v64, v77, 16, 1                                  // 000000005CB4: D1C80040 0205214D
	v_add3_u32 v64, v77, v64, v67                              // 000000005CBC: D1FF0040 050E814D
	v_cndmask_b32_e64 v41, v64, v66, s[70:71]                  // 000000005CC4: D1000029 011A8540
	v_and_or_b32 v72, v41, v65, v40                            // 000000005CCC: D2010048 04A28329
	v_mfma_f32_32x32x8_bf16 v[84:99], a[136:137], a[40:41], v[84:99]// 000000005CD4: D3E00054 1D525188
	v_cmp_u_f32_e64 s[70:71], v78, v78                         // 000000005CDC: D0480046 00029D4E
	v_bfe_u32 v64, v78, 16, 1                                  // 000000005CE4: D1C80040 0205214E
	v_add3_u32 v64, v78, v64, v67                              // 000000005CEC: D1FF0040 050E814E
	v_cndmask_b32_e64 v40, v64, v66, s[70:71]                  // 000000005CF4: D1000028 011A8540
	v_lshrrev_b32_e32 v40, 16, v40                             // 000000005CFC: 20505090
	v_cmp_u_f32_e64 s[70:71], v79, v79                         // 000000005D00: D0480046 00029F4F
	v_bfe_u32 v64, v79, 16, 1                                  // 000000005D08: D1C80040 0205214F
	v_add3_u32 v64, v79, v64, v67                              // 000000005D10: D1FF0040 050E814F
	v_cndmask_b32_e64 v41, v64, v66, s[70:71]                  // 000000005D18: D1000029 011A8540
	v_and_or_b32 v73, v41, v65, v40                            // 000000005D20: D2010049 04A28329
	v_mfma_f32_32x32x8_bf16 v[84:99], a[138:139], a[42:43], v[84:99]// 000000005D28: D3E00054 1D52558A
	s_add_u32 m0, 0x440, m0                                    // 000000005D30: 807C7CFF 00000440
	buffer_load_dword v26, s[12:15], s60 offen lds             // 000000005D38: E0511000 3C03001A
	v_cmp_u_f32_e64 s[70:71], v80, v80                         // 000000005D40: D0480046 0002A150
	v_bfe_u32 v64, v80, 16, 1                                  // 000000005D48: D1C80040 02052150
	v_add3_u32 v64, v80, v64, v67                              // 000000005D50: D1FF0040 050E8150
	v_cndmask_b32_e64 v40, v64, v66, s[70:71]                  // 000000005D58: D1000028 011A8540
	v_lshrrev_b32_e32 v40, 16, v40                             // 000000005D60: 20505090
	v_cmp_u_f32_e64 s[70:71], v81, v81                         // 000000005D64: D0480046 0002A351
	v_bfe_u32 v64, v81, 16, 1                                  // 000000005D6C: D1C80040 02052151
	v_add3_u32 v64, v81, v64, v67                              // 000000005D74: D1FF0040 050E8151
	v_cndmask_b32_e64 v41, v64, v66, s[70:71]                  // 000000005D7C: D1000029 011A8540
	v_and_or_b32 v74, v41, v65, v40                            // 000000005D84: D201004A 04A28329
	v_mfma_f32_32x32x8_bf16 v[84:99], a[140:141], a[44:45], v[84:99]// 000000005D8C: D3E00054 1D52598C
	v_cmp_u_f32_e64 s[70:71], v82, v82                         // 000000005D94: D0480046 0002A552
	v_bfe_u32 v64, v82, 16, 1                                  // 000000005D9C: D1C80040 02052152
	v_add3_u32 v64, v82, v64, v67                              // 000000005DA4: D1FF0040 050E8152
	v_cndmask_b32_e64 v40, v64, v66, s[70:71]                  // 000000005DAC: D1000028 011A8540
	v_lshrrev_b32_e32 v40, 16, v40                             // 000000005DB4: 20505090
	v_cmp_u_f32_e64 s[70:71], v83, v83                         // 000000005DB8: D0480046 0002A753
	v_bfe_u32 v64, v83, 16, 1                                  // 000000005DC0: D1C80040 02052153
	v_add3_u32 v64, v83, v64, v67                              // 000000005DC8: D1FF0040 050E8153
	v_cndmask_b32_e64 v41, v64, v66, s[70:71]                  // 000000005DD0: D1000029 011A8540
	v_and_or_b32 v75, v41, v65, v40                            // 000000005DD8: D201004B 04A28329
	v_mfma_f32_32x32x8_bf16 v[84:99], a[142:143], a[46:47], v[84:99]// 000000005DE0: D3E00054 1D525D8E
	s_add_u32 m0, 0x440, m0                                    // 000000005DE8: 807C7CFF 00000440
	buffer_load_dword v27, s[12:15], s60 offen lds             // 000000005DF0: E0511000 3C03001B
	s_add_i32 s60, s43, s60                                    // 000000005DF8: 813C3C2B
	s_cmp_lt_i32 s52, s54                                      // 000000005DFC: BF043634
	s_cbranch_scc1 label_0B04                                  // 000000005E00: BF850043
	s_sub_i32 s40, s7, s52                                     // 000000005E04: 81A83407
	v_sub_i32 v40, s40, v54                                    // 000000005E08: D29D0028 00026C28
	v_cmp_lt_i32_e64 s[72:73], 0, v40                          // 000000005E10: D0C10048 00025080
	v_cmp_lt_i32_e64 s[74:75], 1, v40                          // 000000005E18: D0C1004A 00025081
	v_cndmask_b32_e64 v84, v55, v84, s[72:73]                  // 000000005E20: D1000054 0122A937
	v_cndmask_b32_e64 v85, v55, v85, s[74:75]                  // 000000005E28: D1000055 012AAB37
	v_cmp_lt_i32_e64 s[72:73], 2, v40                          // 000000005E30: D0C10048 00025082
	v_cmp_lt_i32_e64 s[74:75], 3, v40                          // 000000005E38: D0C1004A 00025083
	v_cndmask_b32_e64 v86, v55, v86, s[72:73]                  // 000000005E40: D1000056 0122AD37
	v_cndmask_b32_e64 v87, v55, v87, s[74:75]                  // 000000005E48: D1000057 012AAF37
	v_cmp_lt_i32_e64 s[72:73], 8, v40                          // 000000005E50: D0C10048 00025088
	v_cmp_lt_i32_e64 s[74:75], 9, v40                          // 000000005E58: D0C1004A 00025089
	v_cndmask_b32_e64 v88, v55, v88, s[72:73]                  // 000000005E60: D1000058 0122B137
	v_cndmask_b32_e64 v89, v55, v89, s[74:75]                  // 000000005E68: D1000059 012AB337
	v_cmp_lt_i32_e64 s[72:73], 10, v40                         // 000000005E70: D0C10048 0002508A
	v_cmp_lt_i32_e64 s[74:75], 11, v40                         // 000000005E78: D0C1004A 0002508B
	v_cndmask_b32_e64 v90, v55, v90, s[72:73]                  // 000000005E80: D100005A 0122B537
	v_cndmask_b32_e64 v91, v55, v91, s[74:75]                  // 000000005E88: D100005B 012AB737
	v_cmp_lt_i32_e64 s[72:73], 16, v40                         // 000000005E90: D0C10048 00025090
	v_cmp_lt_i32_e64 s[74:75], 17, v40                         // 000000005E98: D0C1004A 00025091
	v_cndmask_b32_e64 v92, v55, v92, s[72:73]                  // 000000005EA0: D100005C 0122B937
	v_cndmask_b32_e64 v93, v55, v93, s[74:75]                  // 000000005EA8: D100005D 012ABB37
	v_cmp_lt_i32_e64 s[72:73], 18, v40                         // 000000005EB0: D0C10048 00025092
	v_cmp_lt_i32_e64 s[74:75], 19, v40                         // 000000005EB8: D0C1004A 00025093
	v_cndmask_b32_e64 v94, v55, v94, s[72:73]                  // 000000005EC0: D100005E 0122BD37
	v_cndmask_b32_e64 v95, v55, v95, s[74:75]                  // 000000005EC8: D100005F 012ABF37
	v_cmp_lt_i32_e64 s[72:73], 24, v40                         // 000000005ED0: D0C10048 00025098
	v_cmp_lt_i32_e64 s[74:75], 25, v40                         // 000000005ED8: D0C1004A 00025099
	v_cndmask_b32_e64 v96, v55, v96, s[72:73]                  // 000000005EE0: D1000060 0122C137
	v_cndmask_b32_e64 v97, v55, v97, s[74:75]                  // 000000005EE8: D1000061 012AC337
	v_cmp_lt_i32_e64 s[72:73], 26, v40                         // 000000005EF0: D0C10048 0002509A
	v_cmp_lt_i32_e64 s[74:75], 27, v40                         // 000000005EF8: D0C1004A 0002509B
	v_cndmask_b32_e64 v98, v55, v98, s[72:73]                  // 000000005F00: D1000062 0122C537
	v_cndmask_b32_e64 v99, v55, v99, s[74:75]                  // 000000005F08: D1000063 012AC737

0000000000005f10 <label_0B04>:
	s_waitcnt vmcnt(12) lgkmcnt(12)                            // 000000005F10: BF8C0C7C
	s_barrier                                                  // 000000005F14: BF8A0000
	v_mfma_f32_32x32x8_bf16 v[100:115], a[144:145], v[68:69], v[100:115]// 000000005F18: D3E00064 0D928990
	v_max3_f32 v49, v84, v85, v52                              // 000000005F20: D1D30031 04D2AB54
	v_max3_f32 v49, v86, v87, v49                              // 000000005F28: D1D30031 04C6AF56
	v_max3_f32 v49, v88, v89, v49                              // 000000005F30: D1D30031 04C6B358
	v_max3_f32 v49, v90, v91, v49                              // 000000005F38: D1D30031 04C6B75A
	v_max3_f32 v49, v92, v93, v49                              // 000000005F40: D1D30031 04C6BB5C
	v_max3_f32 v49, v94, v95, v49                              // 000000005F48: D1D30031 04C6BF5E
	v_max3_f32 v49, v96, v97, v49                              // 000000005F50: D1D30031 04C6C360
	v_mfma_f32_32x32x8_bf16 v[100:115], a[146:147], v[70:71], v[100:115]// 000000005F58: D3E00064 0D928D92
	buffer_load_dword v172, v28, s[16:19], s35 offen           // 000000005F60: E0501000 2304AC1C
	v_max3_f32 v49, v98, v99, v49                              // 000000005F68: D1D30031 04C6C762
	ds_permute_b32 v48, v56, v49                               // 000000005F70: D87C0000 30003138
	v_mfma_f32_32x32x8_bf16 v[100:115], a[148:149], v[72:73], v[100:115]// 000000005F78: D3E00064 0D929194
	v_perm_b32 v180, v165, v164, s50                           // 000000005F80: D1ED00B4 00CB49A5
	v_perm_b32 v184, v165, v164, s49                           // 000000005F88: D1ED00B8 00C749A5
	v_perm_b32 v181, v167, v166, s50                           // 000000005F90: D1ED00B5 00CB4DA7
	v_perm_b32 v185, v167, v166, s49                           // 000000005F98: D1ED00B9 00C74DA7
	v_nop                                                      // 000000005FA0: 7E000000
	s_nop 0                                                    // 000000005FA4: BF800000
	v_mfma_f32_32x32x8_bf16 v[100:115], a[150:151], v[74:75], v[100:115]// 000000005FA8: D3E00064 0D929596
	buffer_load_dword v173, v29, s[16:19], s35 offen           // 000000005FB0: E0501000 2304AD1D
	v_perm_b32 v182, v169, v168, s50                           // 000000005FB8: D1ED00B6 00CB51A9
	v_perm_b32 v186, v169, v168, s49                           // 000000005FC0: D1ED00BA 00C751A9
	v_perm_b32 v183, v171, v170, s50                           // 000000005FC8: D1ED00B7 00CB55AB
	v_perm_b32 v187, v171, v170, s49                           // 000000005FD0: D1ED00BB 00C755AB
	v_nop                                                      // 000000005FD8: 7E000000
	v_mfma_f32_32x32x8_bf16 v[116:131], a[152:153], v[68:69], v[116:131]// 000000005FDC: D3E00074 0DD28998
	s_waitcnt lgkmcnt(0)                                       // 000000005FE4: BF8CC07F
	v_max_f32_e32 v49, v48, v49                                // 000000005FE8: 16626330
	v_sub_f32_e32 v44, v52, v49                                // 000000005FEC: 04586334
	v_mov_b32_e32 v52, v49                                     // 000000005FF0: 7E680331
	v_mul_f32_e32 v51, s56, v49                                // 000000005FF4: 0A666238
	v_mul_f32_e32 v44, s56, v44                                // 000000005FF8: 0A585838
	v_mfma_f32_32x32x8_bf16 v[116:131], a[154:155], v[70:71], v[116:131]// 000000005FFC: D3E00074 0DD28D9A
	buffer_load_dword v174, v30, s[16:19], s35 offen           // 000000006004: E0501000 2304AE1E
	v_exp_f32_e32 v44, v44                                     // 00000000600C: 7E58412C
	v_fma_f32 v84, v84, s56, -v51                              // 000000006010: D1CB0054 84CC7154
	v_fma_f32 v85, v85, s56, -v51                              // 000000006018: D1CB0055 84CC7155
	v_mfma_f32_32x32x8_bf16 v[116:131], a[156:157], v[72:73], v[116:131]// 000000006020: D3E00074 0DD2919C
	v_fma_f32 v86, v86, s56, -v51                              // 000000006028: D1CB0056 84CC7156
	v_fma_f32 v87, v87, s56, -v51                              // 000000006030: D1CB0057 84CC7157
	v_fma_f32 v88, v88, s56, -v51                              // 000000006038: D1CB0058 84CC7158
	v_fma_f32 v89, v89, s56, -v51                              // 000000006040: D1CB0059 84CC7159
	v_fma_f32 v90, v90, s56, -v51                              // 000000006048: D1CB005A 84CC715A
	v_fma_f32 v91, v91, s56, -v51                              // 000000006050: D1CB005B 84CC715B
	v_fma_f32 v92, v92, s56, -v51                              // 000000006058: D1CB005C 84CC715C
	v_mfma_f32_32x32x8_bf16 v[116:131], a[158:159], v[74:75], v[116:131]// 000000006060: D3E00074 0DD2959E
	buffer_load_dword v175, v31, s[16:19], s35 offen           // 000000006068: E0501000 2304AF1F
	ds_read_b128 a[176:179], v37 offset:34432                  // 000000006070: DBFE8680 B0000025
	ds_read_b128 a[180:183], v37 offset:36480                  // 000000006078: DBFE8E80 B4000025
	ds_read_b128 a[184:187], v37 offset:34688                  // 000000006080: DBFE8780 B8000025
	ds_read_b128 a[188:191], v37 offset:36736                  // 000000006088: DBFE8F80 BC000025
	v_mfma_f32_32x32x8_bf16 v[132:147], a[160:161], v[68:69], v[132:147]// 000000006090: D3E00084 0E1289A0
	v_fma_f32 v93, v93, s56, -v51                              // 000000006098: D1CB005D 84CC715D
	v_fma_f32 v94, v94, s56, -v51                              // 0000000060A0: D1CB005E 84CC715E
	v_fma_f32 v95, v95, s56, -v51                              // 0000000060A8: D1CB005F 84CC715F
	v_fma_f32 v96, v96, s56, -v51                              // 0000000060B0: D1CB0060 84CC7160
	v_fma_f32 v97, v97, s56, -v51                              // 0000000060B8: D1CB0061 84CC7161
	v_fma_f32 v98, v98, s56, -v51                              // 0000000060C0: D1CB0062 84CC7162
	v_fma_f32 v99, v99, s56, -v51                              // 0000000060C8: D1CB0063 84CC7163
	v_mfma_f32_32x32x8_bf16 v[132:147], a[162:163], v[70:71], v[132:147]// 0000000060D0: D3E00084 0E128DA2
	buffer_load_dword v176, v32, s[16:19], s35 offen           // 0000000060D8: E0501000 2304B020
	v_exp_f32_e32 v84, v84                                     // 0000000060E0: 7EA84154
	v_exp_f32_e32 v85, v85                                     // 0000000060E4: 7EAA4155
	v_mfma_f32_32x32x8_bf16 v[132:147], a[164:165], v[72:73], v[132:147]// 0000000060E8: D3E00084 0E1291A4
	v_exp_f32_e32 v86, v86                                     // 0000000060F0: 7EAC4156
	v_exp_f32_e32 v87, v87                                     // 0000000060F4: 7EAE4157
	v_mfma_f32_32x32x8_bf16 v[132:147], a[166:167], v[74:75], v[132:147]// 0000000060F8: D3E00084 0E1295A6
	buffer_load_dword v177, v33, s[16:19], s35 offen           // 000000006100: E0501000 2304B121
	ds_read_b128 a[192:195], v37 offset:34944                  // 000000006108: DBFE8880 C0000025
	ds_read_b128 a[196:199], v37 offset:36992                  // 000000006110: DBFE9080 C4000025
	ds_read_b128 a[200:203], v37 offset:35200                  // 000000006118: DBFE8980 C8000025
	ds_read_b128 a[204:207], v37 offset:37248                  // 000000006120: DBFE9180 CC000025
	v_mfma_f32_32x32x8_bf16 v[148:163], a[168:169], v[68:69], v[148:163]// 000000006128: D3E00094 0E5289A8
	v_exp_f32_e32 v88, v88                                     // 000000006130: 7EB04158
	v_exp_f32_e32 v89, v89                                     // 000000006134: 7EB24159
	v_mfma_f32_32x32x8_bf16 v[148:163], a[170:171], v[70:71], v[148:163]// 000000006138: D3E00094 0E528DAA
	buffer_load_dword v178, v34, s[16:19], s35 offen           // 000000006140: E0501000 2304B222
	v_exp_f32_e32 v90, v90                                     // 000000006148: 7EB4415A
	v_exp_f32_e32 v91, v91                                     // 00000000614C: 7EB6415B
	v_mfma_f32_32x32x8_bf16 v[148:163], a[172:173], v[72:73], v[148:163]// 000000006150: D3E00094 0E5291AC
	v_exp_f32_e32 v92, v92                                     // 000000006158: 7EB8415C
	v_exp_f32_e32 v93, v93                                     // 00000000615C: 7EBA415D
	v_mfma_f32_32x32x8_bf16 v[148:163], a[174:175], v[74:75], v[148:163]// 000000006160: D3E00094 0E5295AE
	buffer_load_dword v179, v35, s[16:19], s35 offen           // 000000006168: E0501000 2304B323
	v_exp_f32_e32 v94, v94                                     // 000000006170: 7EBC415E
	s_add_i32 s35, s44, s35                                    // 000000006174: 8123232C
	s_add_i32 s52, s52, s53                                    // 000000006178: 81343534
	s_addk_i32 s39, 0x20                                       // 00000000617C: B7270020
	s_cmp_lt_i32 s39, s38                                      // 000000006180: BF042627
	v_mov_b32_e32 v45, v44                                     // 000000006184: 7E5A032C
	v_mul_f32_e32 v128, v44, v128                              // 000000006188: 0B01012C
	v_mul_f32_e32 v129, v44, v129                              // 00000000618C: 0B03032C
	v_pk_mul_f32 v[130:131], v[44:45], v[130:131]              // 000000006190: D3B14082 1803052C
	v_pk_mul_f32 v[132:133], v[44:45], v[132:133]              // 000000006198: D3B14084 1803092C
	v_pk_mul_f32 v[134:135], v[44:45], v[134:135]              // 0000000061A0: D3B14086 18030D2C
	v_pk_mul_f32 v[136:137], v[44:45], v[136:137]              // 0000000061A8: D3B14088 1803112C
	v_pk_mul_f32 v[138:139], v[44:45], v[138:139]              // 0000000061B0: D3B1408A 1803152C
	v_pk_mul_f32 v[140:141], v[44:45], v[140:141]              // 0000000061B8: D3B1408C 1803192C
	v_pk_mul_f32 v[142:143], v[44:45], v[142:143]              // 0000000061C0: D3B1408E 18031D2C
	v_pk_mul_f32 v[144:145], v[44:45], v[144:145]              // 0000000061C8: D3B14090 1803212C
	v_pk_mul_f32 v[146:147], v[44:45], v[146:147]              // 0000000061D0: D3B14092 1803252C
	v_pk_mul_f32 v[148:149], v[44:45], v[148:149]              // 0000000061D8: D3B14094 1803292C
	v_pk_mul_f32 v[150:151], v[44:45], v[150:151]              // 0000000061E0: D3B14096 18032D2C
	v_pk_mul_f32 v[152:153], v[44:45], v[152:153]              // 0000000061E8: D3B14098 1803312C
	v_pk_mul_f32 v[154:155], v[44:45], v[154:155]              // 0000000061F0: D3B1409A 1803352C
	v_pk_mul_f32 v[156:157], v[44:45], v[156:157]              // 0000000061F8: D3B1409C 1803392C
	v_pk_mul_f32 v[158:159], v[44:45], v[158:159]              // 000000006200: D3B1409E 18033D2C
	v_pk_mul_f32 v[160:161], v[44:45], v[160:161]              // 000000006208: D3B140A0 1803412C
	v_pk_mul_f32 v[162:163], v[44:45], v[162:163]              // 000000006210: D3B140A2 1803452C
	s_cbranch_scc0 label_0E18                                  // 000000006218: BF840251
	s_waitcnt vmcnt(8) lgkmcnt(8)                              // 00000000621C: BF8C0878
	s_barrier                                                  // 000000006220: BF8A0000
	v_mfma_f32_32x32x8_bf16 v[68:83], a[48:49], a[0:1], 0      // 000000006224: D3E00044 1A020130
	v_exp_f32_e32 v95, v95                                     // 00000000622C: 7EBE415F
	v_exp_f32_e32 v96, v96                                     // 000000006230: 7EC04160
	v_mfma_f32_32x32x8_bf16 v[68:83], a[50:51], a[2:3], v[68:83]// 000000006234: D3E00044 1D120532
	s_mov_b32 m0, s68                                          // 00000000623C: BEFC0044
	buffer_load_dword v16, s[12:15], s60 offen lds             // 000000006240: E0511000 3C030010
	ds_write_b128 v38, v[180:183] offset:26112                 // 000000006248: D9BE6600 0000B426
	v_mfma_f32_32x32x8_bf16 v[68:83], a[52:53], a[4:5], v[68:83]// 000000006250: D3E00044 1D120934
	v_exp_f32_e32 v97, v97                                     // 000000006258: 7EC24161
	v_exp_f32_e32 v98, v98                                     // 00000000625C: 7EC44162
	v_mfma_f32_32x32x8_bf16 v[68:83], a[54:55], a[6:7], v[68:83]// 000000006260: D3E00044 1D120D36
	s_add_u32 m0, 0x440, m0                                    // 000000006268: 807C7CFF 00000440
	buffer_load_dword v17, s[12:15], s60 offen lds             // 000000006270: E0511000 3C030011
	ds_write_b128 v38, v[184:187] offset:30272                 // 000000006278: D9BE7640 0000B826
	v_mfma_f32_32x32x8_bf16 v[68:83], a[56:57], a[8:9], v[68:83]// 000000006280: D3E00044 1D121138
	v_exp_f32_e32 v99, v99                                     // 000000006288: 7EC64163
	v_mul_f32_e32 v46, v44, v46                                // 00000000628C: 0A5C5D2C
	v_add_f32_e32 v62, v85, v84                                // 000000006290: 027CA955
	v_add_f32_e32 v62, v86, v62                                // 000000006294: 027C7D56
	v_mfma_f32_32x32x8_bf16 v[68:83], a[58:59], a[10:11], v[68:83]// 000000006298: D3E00044 1D12153A
	s_add_u32 m0, 0x440, m0                                    // 0000000062A0: 807C7CFF 00000440
	buffer_load_dword v18, s[12:15], s60 offen lds             // 0000000062A8: E0511000 3C030012
	ds_read_b128 a[96:99], v36 offset:13056                    // 0000000062B0: DBFE3300 60000024
	ds_read_b128 a[100:103], v36 offset:13088                  // 0000000062B8: DBFE3320 64000024
	v_add_f32_e32 v62, v87, v62                                // 0000000062C0: 027C7D57
	v_add_f32_e32 v62, v88, v62                                // 0000000062C4: 027C7D58
	v_mfma_f32_32x32x8_bf16 v[68:83], a[60:61], a[12:13], v[68:83]// 0000000062C8: D3E00044 1D12193C
	v_add_f32_e32 v62, v89, v62                                // 0000000062D0: 027C7D59
	v_add_f32_e32 v62, v90, v62                                // 0000000062D4: 027C7D5A
	v_add_f32_e32 v62, v91, v62                                // 0000000062D8: 027C7D5B
	v_add_f32_e32 v62, v92, v62                                // 0000000062DC: 027C7D5C
	v_add_f32_e32 v62, v93, v62                                // 0000000062E0: 027C7D5D
	v_add_f32_e32 v62, v94, v62                                // 0000000062E4: 027C7D5E
	v_add_f32_e32 v62, v95, v62                                // 0000000062E8: 027C7D5F
	v_mfma_f32_32x32x8_bf16 v[68:83], a[62:63], a[14:15], v[68:83]// 0000000062EC: D3E00044 1D121D3E
	s_add_u32 m0, 0x440, m0                                    // 0000000062F4: 807C7CFF 00000440
	buffer_load_dword v19, s[12:15], s60 offen lds             // 0000000062FC: E0511000 3C030013
	ds_read_b128 a[104:107], v36 offset:13120                  // 000000006304: DBFE3340 68000024
	ds_read_b128 a[108:111], v36 offset:13152                  // 00000000630C: DBFE3360 6C000024
	v_add_f32_e32 v62, v96, v62                                // 000000006314: 027C7D60
	v_add_f32_e32 v62, v97, v62                                // 000000006318: 027C7D61
	v_mfma_f32_32x32x8_bf16 v[68:83], a[64:65], a[16:17], v[68:83]// 00000000631C: D3E00044 1D122140
	v_add_f32_e32 v62, v98, v62                                // 000000006324: 027C7D62
	v_add_f32_e32 v62, v99, v62                                // 000000006328: 027C7D63
	v_add_f32_e32 v46, v62, v46                                // 00000000632C: 025C5D3E
	v_mul_f32_e32 v100, v44, v100                              // 000000006330: 0AC8C92C
	v_mul_f32_e32 v101, v44, v101                              // 000000006334: 0ACACB2C
	v_mul_f32_e32 v102, v44, v102                              // 000000006338: 0ACCCD2C
	v_mul_f32_e32 v103, v44, v103                              // 00000000633C: 0ACECF2C
	v_mfma_f32_32x32x8_bf16 v[68:83], a[66:67], a[18:19], v[68:83]// 000000006340: D3E00044 1D122542
	s_add_u32 m0, 0x440, m0                                    // 000000006348: 807C7CFF 00000440
	buffer_load_dword v20, s[12:15], s60 offen lds             // 000000006350: E0511000 3C030014
	ds_read_b128 a[112:115], v36 offset:17408                  // 000000006358: DBFE4400 70000024
	ds_read_b128 a[116:119], v36 offset:17440                  // 000000006360: DBFE4420 74000024
	v_mul_f32_e32 v104, v44, v104                              // 000000006368: 0AD0D12C
	v_mul_f32_e32 v105, v44, v105                              // 00000000636C: 0AD2D32C
	v_mfma_f32_32x32x8_bf16 v[68:83], a[68:69], a[20:21], v[68:83]// 000000006370: D3E00044 1D122944
	v_mul_f32_e32 v106, v44, v106                              // 000000006378: 0AD4D52C
	v_mul_f32_e32 v107, v44, v107                              // 00000000637C: 0AD6D72C
	v_mul_f32_e32 v108, v44, v108                              // 000000006380: 0AD8D92C
	v_mul_f32_e32 v109, v44, v109                              // 000000006384: 0ADADB2C
	v_mul_f32_e32 v110, v44, v110                              // 000000006388: 0ADCDD2C
	v_mul_f32_e32 v111, v44, v111                              // 00000000638C: 0ADEDF2C
	v_mul_f32_e32 v112, v44, v112                              // 000000006390: 0AE0E12C
	v_mfma_f32_32x32x8_bf16 v[68:83], a[70:71], a[22:23], v[68:83]// 000000006394: D3E00044 1D122D46
	s_add_u32 m0, 0x440, m0                                    // 00000000639C: 807C7CFF 00000440
	buffer_load_dword v21, s[12:15], s60 offen lds             // 0000000063A4: E0511000 3C030015
	ds_read_b128 a[120:123], v36 offset:17472                  // 0000000063AC: DBFE4440 78000024
	ds_read_b128 a[124:127], v36 offset:17504                  // 0000000063B4: DBFE4460 7C000024
	v_mul_f32_e32 v113, v44, v113                              // 0000000063BC: 0AE2E32C
	v_mul_f32_e32 v114, v44, v114                              // 0000000063C0: 0AE4E52C
	v_mfma_f32_32x32x8_bf16 v[68:83], a[72:73], a[24:25], v[68:83]// 0000000063C4: D3E00044 1D123148
	v_mul_f32_e32 v115, v44, v115                              // 0000000063CC: 0AE6E72C
	v_mul_f32_e32 v116, v44, v116                              // 0000000063D0: 0AE8E92C
	v_mul_f32_e32 v117, v44, v117                              // 0000000063D4: 0AEAEB2C
	v_mul_f32_e32 v118, v44, v118                              // 0000000063D8: 0AECED2C
	v_mul_f32_e32 v119, v44, v119                              // 0000000063DC: 0AEEEF2C
	v_mul_f32_e32 v120, v44, v120                              // 0000000063E0: 0AF0F12C
	v_mul_f32_e32 v121, v44, v121                              // 0000000063E4: 0AF2F32C
	v_mfma_f32_32x32x8_bf16 v[68:83], a[74:75], a[26:27], v[68:83]// 0000000063E8: D3E00044 1D12354A
	s_add_u32 m0, 0x440, m0                                    // 0000000063F0: 807C7CFF 00000440
	buffer_load_dword v22, s[12:15], s60 offen lds             // 0000000063F8: E0511000 3C030016
	ds_read_b128 a[128:131], v36 offset:21760                  // 000000006400: DBFE5500 80000024
	ds_read_b128 a[132:135], v36 offset:21792                  // 000000006408: DBFE5520 84000024
	v_mul_f32_e32 v122, v44, v122                              // 000000006410: 0AF4F52C
	v_mul_f32_e32 v123, v44, v123                              // 000000006414: 0AF6F72C
	v_mfma_f32_32x32x8_bf16 v[68:83], a[76:77], a[28:29], v[68:83]// 000000006418: D3E00044 1D12394C
	v_mul_f32_e32 v124, v44, v124                              // 000000006420: 0AF8F92C
	v_mul_f32_e32 v125, v44, v125                              // 000000006424: 0AFAFB2C
	v_mul_f32_e32 v126, v44, v126                              // 000000006428: 0AFCFD2C
	v_mul_f32_e32 v127, v44, v127                              // 00000000642C: 0AFEFF2C
	v_mfma_f32_32x32x8_bf16 v[68:83], a[78:79], a[30:31], v[68:83]// 000000006430: D3E00044 1D123D4E
	s_add_u32 m0, 0x440, m0                                    // 000000006438: 807C7CFF 00000440
	buffer_load_dword v23, s[12:15], s60 offen lds             // 000000006440: E0511000 3C030017
	ds_read_b128 a[136:139], v36 offset:21824                  // 000000006448: DBFE5540 88000024
	ds_read_b128 a[140:143], v36 offset:21856                  // 000000006450: DBFE5560 8C000024
	v_cmp_u_f32_e64 s[70:71], v84, v84                         // 000000006458: D0480046 0002A954
	v_bfe_u32 v64, v84, 16, 1                                  // 000000006460: D1C80040 02052154
	v_add3_u32 v64, v84, v64, v67                              // 000000006468: D1FF0040 050E8154
	v_cndmask_b32_e64 v40, v64, v66, s[70:71]                  // 000000006470: D1000028 011A8540
	v_lshrrev_b32_e32 v40, 16, v40                             // 000000006478: 20505090
	v_cmp_u_f32_e64 s[70:71], v85, v85                         // 00000000647C: D0480046 0002AB55
	v_bfe_u32 v64, v85, 16, 1                                  // 000000006484: D1C80040 02052155
	v_add3_u32 v64, v85, v64, v67                              // 00000000648C: D1FF0040 050E8155
	v_cndmask_b32_e64 v41, v64, v66, s[70:71]                  // 000000006494: D1000029 011A8540
	v_and_or_b32 v84, v41, v65, v40                            // 00000000649C: D2010054 04A28329
	v_mfma_f32_32x32x8_bf16 v[68:83], a[80:81], a[32:33], v[68:83]// 0000000064A4: D3E00044 1D124150
	v_cmp_u_f32_e64 s[70:71], v86, v86                         // 0000000064AC: D0480046 0002AD56
	v_bfe_u32 v64, v86, 16, 1                                  // 0000000064B4: D1C80040 02052156
	v_add3_u32 v64, v86, v64, v67                              // 0000000064BC: D1FF0040 050E8156
	v_cndmask_b32_e64 v40, v64, v66, s[70:71]                  // 0000000064C4: D1000028 011A8540
	v_lshrrev_b32_e32 v40, 16, v40                             // 0000000064CC: 20505090
	v_cmp_u_f32_e64 s[70:71], v87, v87                         // 0000000064D0: D0480046 0002AF57
	v_bfe_u32 v64, v87, 16, 1                                  // 0000000064D8: D1C80040 02052157
	v_add3_u32 v64, v87, v64, v67                              // 0000000064E0: D1FF0040 050E8157
	v_cndmask_b32_e64 v41, v64, v66, s[70:71]                  // 0000000064E8: D1000029 011A8540
	v_and_or_b32 v85, v41, v65, v40                            // 0000000064F0: D2010055 04A28329
	v_mfma_f32_32x32x8_bf16 v[68:83], a[82:83], a[34:35], v[68:83]// 0000000064F8: D3E00044 1D124552
	s_add_u32 m0, 0x440, m0                                    // 000000006500: 807C7CFF 00000440
	buffer_load_dword v24, s[12:15], s60 offen lds             // 000000006508: E0511000 3C030018
	v_cmp_u_f32_e64 s[70:71], v88, v88                         // 000000006510: D0480046 0002B158
	v_bfe_u32 v64, v88, 16, 1                                  // 000000006518: D1C80040 02052158
	v_add3_u32 v64, v88, v64, v67                              // 000000006520: D1FF0040 050E8158
	v_cndmask_b32_e64 v40, v64, v66, s[70:71]                  // 000000006528: D1000028 011A8540
	v_lshrrev_b32_e32 v40, 16, v40                             // 000000006530: 20505090
	v_cmp_u_f32_e64 s[70:71], v89, v89                         // 000000006534: D0480046 0002B359
	v_bfe_u32 v64, v89, 16, 1                                  // 00000000653C: D1C80040 02052159
	v_add3_u32 v64, v89, v64, v67                              // 000000006544: D1FF0040 050E8159
	v_cndmask_b32_e64 v41, v64, v66, s[70:71]                  // 00000000654C: D1000029 011A8540
	v_and_or_b32 v86, v41, v65, v40                            // 000000006554: D2010056 04A28329
	v_mfma_f32_32x32x8_bf16 v[68:83], a[84:85], a[36:37], v[68:83]// 00000000655C: D3E00044 1D124954
	v_cmp_u_f32_e64 s[70:71], v90, v90                         // 000000006564: D0480046 0002B55A
	v_bfe_u32 v64, v90, 16, 1                                  // 00000000656C: D1C80040 0205215A
	v_add3_u32 v64, v90, v64, v67                              // 000000006574: D1FF0040 050E815A
	v_cndmask_b32_e64 v40, v64, v66, s[70:71]                  // 00000000657C: D1000028 011A8540
	v_lshrrev_b32_e32 v40, 16, v40                             // 000000006584: 20505090
	v_cmp_u_f32_e64 s[70:71], v91, v91                         // 000000006588: D0480046 0002B75B
	v_bfe_u32 v64, v91, 16, 1                                  // 000000006590: D1C80040 0205215B
	v_add3_u32 v64, v91, v64, v67                              // 000000006598: D1FF0040 050E815B
	v_cndmask_b32_e64 v41, v64, v66, s[70:71]                  // 0000000065A0: D1000029 011A8540
	v_and_or_b32 v87, v41, v65, v40                            // 0000000065A8: D2010057 04A28329
	v_mfma_f32_32x32x8_bf16 v[68:83], a[86:87], a[38:39], v[68:83]// 0000000065B0: D3E00044 1D124D56
	s_add_u32 m0, 0x440, m0                                    // 0000000065B8: 807C7CFF 00000440
	buffer_load_dword v25, s[12:15], s60 offen lds             // 0000000065C0: E0511000 3C030019
	v_cmp_u_f32_e64 s[70:71], v92, v92                         // 0000000065C8: D0480046 0002B95C
	v_bfe_u32 v64, v92, 16, 1                                  // 0000000065D0: D1C80040 0205215C
	v_add3_u32 v64, v92, v64, v67                              // 0000000065D8: D1FF0040 050E815C
	v_cndmask_b32_e64 v40, v64, v66, s[70:71]                  // 0000000065E0: D1000028 011A8540
	v_lshrrev_b32_e32 v40, 16, v40                             // 0000000065E8: 20505090
	v_cmp_u_f32_e64 s[70:71], v93, v93                         // 0000000065EC: D0480046 0002BB5D
	v_bfe_u32 v64, v93, 16, 1                                  // 0000000065F4: D1C80040 0205215D
	v_add3_u32 v64, v93, v64, v67                              // 0000000065FC: D1FF0040 050E815D
	v_cndmask_b32_e64 v41, v64, v66, s[70:71]                  // 000000006604: D1000029 011A8540
	v_and_or_b32 v88, v41, v65, v40                            // 00000000660C: D2010058 04A28329
	v_mfma_f32_32x32x8_bf16 v[68:83], a[88:89], a[40:41], v[68:83]// 000000006614: D3E00044 1D125158
	v_cmp_u_f32_e64 s[70:71], v94, v94                         // 00000000661C: D0480046 0002BD5E
	v_bfe_u32 v64, v94, 16, 1                                  // 000000006624: D1C80040 0205215E
	v_add3_u32 v64, v94, v64, v67                              // 00000000662C: D1FF0040 050E815E
	v_cndmask_b32_e64 v40, v64, v66, s[70:71]                  // 000000006634: D1000028 011A8540
	v_lshrrev_b32_e32 v40, 16, v40                             // 00000000663C: 20505090
	v_cmp_u_f32_e64 s[70:71], v95, v95                         // 000000006640: D0480046 0002BF5F
	v_bfe_u32 v64, v95, 16, 1                                  // 000000006648: D1C80040 0205215F
	v_add3_u32 v64, v95, v64, v67                              // 000000006650: D1FF0040 050E815F
	v_cndmask_b32_e64 v41, v64, v66, s[70:71]                  // 000000006658: D1000029 011A8540
	v_and_or_b32 v89, v41, v65, v40                            // 000000006660: D2010059 04A28329
	v_mfma_f32_32x32x8_bf16 v[68:83], a[90:91], a[42:43], v[68:83]// 000000006668: D3E00044 1D12555A
	s_add_u32 m0, 0x440, m0                                    // 000000006670: 807C7CFF 00000440
	buffer_load_dword v26, s[12:15], s60 offen lds             // 000000006678: E0511000 3C03001A
	v_cmp_u_f32_e64 s[70:71], v96, v96                         // 000000006680: D0480046 0002C160
	v_bfe_u32 v64, v96, 16, 1                                  // 000000006688: D1C80040 02052160
	v_add3_u32 v64, v96, v64, v67                              // 000000006690: D1FF0040 050E8160
	v_cndmask_b32_e64 v40, v64, v66, s[70:71]                  // 000000006698: D1000028 011A8540
	v_lshrrev_b32_e32 v40, 16, v40                             // 0000000066A0: 20505090
	v_cmp_u_f32_e64 s[70:71], v97, v97                         // 0000000066A4: D0480046 0002C361
	v_bfe_u32 v64, v97, 16, 1                                  // 0000000066AC: D1C80040 02052161
	v_add3_u32 v64, v97, v64, v67                              // 0000000066B4: D1FF0040 050E8161
	v_cndmask_b32_e64 v41, v64, v66, s[70:71]                  // 0000000066BC: D1000029 011A8540
	v_and_or_b32 v90, v41, v65, v40                            // 0000000066C4: D201005A 04A28329
	v_mfma_f32_32x32x8_bf16 v[68:83], a[92:93], a[44:45], v[68:83]// 0000000066CC: D3E00044 1D12595C
	v_cmp_u_f32_e64 s[70:71], v98, v98                         // 0000000066D4: D0480046 0002C562
	v_bfe_u32 v64, v98, 16, 1                                  // 0000000066DC: D1C80040 02052162
	v_add3_u32 v64, v98, v64, v67                              // 0000000066E4: D1FF0040 050E8162
	v_cndmask_b32_e64 v40, v64, v66, s[70:71]                  // 0000000066EC: D1000028 011A8540
	v_lshrrev_b32_e32 v40, 16, v40                             // 0000000066F4: 20505090
	v_cmp_u_f32_e64 s[70:71], v99, v99                         // 0000000066F8: D0480046 0002C763
	v_bfe_u32 v64, v99, 16, 1                                  // 000000006700: D1C80040 02052163
	v_add3_u32 v64, v99, v64, v67                              // 000000006708: D1FF0040 050E8163
	v_cndmask_b32_e64 v41, v64, v66, s[70:71]                  // 000000006710: D1000029 011A8540
	v_and_or_b32 v91, v41, v65, v40                            // 000000006718: D201005B 04A28329
	v_mfma_f32_32x32x8_bf16 v[68:83], a[94:95], a[46:47], v[68:83]// 000000006720: D3E00044 1D125D5E
	s_add_u32 m0, 0x440, m0                                    // 000000006728: 807C7CFF 00000440
	buffer_load_dword v27, s[12:15], s60 offen lds             // 000000006730: E0511000 3C03001B
	s_add_i32 s60, s43, s60                                    // 000000006738: 813C3C2B
	s_cmp_lt_i32 s52, s54                                      // 00000000673C: BF043634
	s_cbranch_scc1 label_0D54                                  // 000000006740: BF850043
	s_sub_i32 s40, s7, s52                                     // 000000006744: 81A83407
	v_sub_i32 v40, s40, v54                                    // 000000006748: D29D0028 00026C28
	v_cmp_lt_i32_e64 s[72:73], 0, v40                          // 000000006750: D0C10048 00025080
	v_cmp_lt_i32_e64 s[74:75], 1, v40                          // 000000006758: D0C1004A 00025081
	v_cndmask_b32_e64 v68, v55, v68, s[72:73]                  // 000000006760: D1000044 01228937
	v_cndmask_b32_e64 v69, v55, v69, s[74:75]                  // 000000006768: D1000045 012A8B37
	v_cmp_lt_i32_e64 s[72:73], 2, v40                          // 000000006770: D0C10048 00025082
	v_cmp_lt_i32_e64 s[74:75], 3, v40                          // 000000006778: D0C1004A 00025083
	v_cndmask_b32_e64 v70, v55, v70, s[72:73]                  // 000000006780: D1000046 01228D37
	v_cndmask_b32_e64 v71, v55, v71, s[74:75]                  // 000000006788: D1000047 012A8F37
	v_cmp_lt_i32_e64 s[72:73], 8, v40                          // 000000006790: D0C10048 00025088
	v_cmp_lt_i32_e64 s[74:75], 9, v40                          // 000000006798: D0C1004A 00025089
	v_cndmask_b32_e64 v72, v55, v72, s[72:73]                  // 0000000067A0: D1000048 01229137
	v_cndmask_b32_e64 v73, v55, v73, s[74:75]                  // 0000000067A8: D1000049 012A9337
	v_cmp_lt_i32_e64 s[72:73], 10, v40                         // 0000000067B0: D0C10048 0002508A
	v_cmp_lt_i32_e64 s[74:75], 11, v40                         // 0000000067B8: D0C1004A 0002508B
	v_cndmask_b32_e64 v74, v55, v74, s[72:73]                  // 0000000067C0: D100004A 01229537
	v_cndmask_b32_e64 v75, v55, v75, s[74:75]                  // 0000000067C8: D100004B 012A9737
	v_cmp_lt_i32_e64 s[72:73], 16, v40                         // 0000000067D0: D0C10048 00025090
	v_cmp_lt_i32_e64 s[74:75], 17, v40                         // 0000000067D8: D0C1004A 00025091
	v_cndmask_b32_e64 v76, v55, v76, s[72:73]                  // 0000000067E0: D100004C 01229937
	v_cndmask_b32_e64 v77, v55, v77, s[74:75]                  // 0000000067E8: D100004D 012A9B37
	v_cmp_lt_i32_e64 s[72:73], 18, v40                         // 0000000067F0: D0C10048 00025092
	v_cmp_lt_i32_e64 s[74:75], 19, v40                         // 0000000067F8: D0C1004A 00025093
	v_cndmask_b32_e64 v78, v55, v78, s[72:73]                  // 000000006800: D100004E 01229D37
	v_cndmask_b32_e64 v79, v55, v79, s[74:75]                  // 000000006808: D100004F 012A9F37
	v_cmp_lt_i32_e64 s[72:73], 24, v40                         // 000000006810: D0C10048 00025098
	v_cmp_lt_i32_e64 s[74:75], 25, v40                         // 000000006818: D0C1004A 00025099
	v_cndmask_b32_e64 v80, v55, v80, s[72:73]                  // 000000006820: D1000050 0122A137
	v_cndmask_b32_e64 v81, v55, v81, s[74:75]                  // 000000006828: D1000051 012AA337
	v_cmp_lt_i32_e64 s[72:73], 26, v40                         // 000000006830: D0C10048 0002509A
	v_cmp_lt_i32_e64 s[74:75], 27, v40                         // 000000006838: D0C1004A 0002509B
	v_cndmask_b32_e64 v82, v55, v82, s[72:73]                  // 000000006840: D1000052 0122A537
	v_cndmask_b32_e64 v83, v55, v83, s[74:75]                  // 000000006848: D1000053 012AA737

0000000000006850 <label_0D54>:
	s_waitcnt vmcnt(12) lgkmcnt(12)                            // 000000006850: BF8C0C7C
	s_barrier                                                  // 000000006854: BF8A0000
	v_mfma_f32_32x32x8_bf16 v[100:115], a[176:177], v[84:85], v[100:115]// 000000006858: D3E00064 0D92A9B0
	v_max3_f32 v49, v68, v69, v52                              // 000000006860: D1D30031 04D28B44
	v_max3_f32 v49, v70, v71, v49                              // 000000006868: D1D30031 04C68F46
	v_max3_f32 v49, v72, v73, v49                              // 000000006870: D1D30031 04C69348
	v_max3_f32 v49, v74, v75, v49                              // 000000006878: D1D30031 04C6974A
	v_max3_f32 v49, v76, v77, v49                              // 000000006880: D1D30031 04C69B4C
	v_max3_f32 v49, v78, v79, v49                              // 000000006888: D1D30031 04C69F4E
	v_max3_f32 v49, v80, v81, v49                              // 000000006890: D1D30031 04C6A350
	v_mfma_f32_32x32x8_bf16 v[100:115], a[178:179], v[86:87], v[100:115]// 000000006898: D3E00064 0D92ADB2
	buffer_load_dword v164, v28, s[16:19], s35 offen           // 0000000068A0: E0501000 2304A41C
	v_max3_f32 v49, v82, v83, v49                              // 0000000068A8: D1D30031 04C6A752
	ds_permute_b32 v48, v56, v49                               // 0000000068B0: D87C0000 30003138
	v_mfma_f32_32x32x8_bf16 v[100:115], a[180:181], v[88:89], v[100:115]// 0000000068B8: D3E00064 0D92B1B4
	v_perm_b32 v188, v173, v172, s50                           // 0000000068C0: D1ED00BC 00CB59AD
	v_perm_b32 v192, v173, v172, s49                           // 0000000068C8: D1ED00C0 00C759AD
	v_perm_b32 v189, v175, v174, s50                           // 0000000068D0: D1ED00BD 00CB5DAF
	v_perm_b32 v193, v175, v174, s49                           // 0000000068D8: D1ED00C1 00C75DAF
	v_nop                                                      // 0000000068E0: 7E000000
	s_nop 0                                                    // 0000000068E4: BF800000
	v_mfma_f32_32x32x8_bf16 v[100:115], a[182:183], v[90:91], v[100:115]// 0000000068E8: D3E00064 0D92B5B6
	buffer_load_dword v165, v29, s[16:19], s35 offen           // 0000000068F0: E0501000 2304A51D
	v_perm_b32 v190, v177, v176, s50                           // 0000000068F8: D1ED00BE 00CB61B1
	v_perm_b32 v194, v177, v176, s49                           // 000000006900: D1ED00C2 00C761B1
	v_perm_b32 v191, v179, v178, s50                           // 000000006908: D1ED00BF 00CB65B3
	v_perm_b32 v195, v179, v178, s49                           // 000000006910: D1ED00C3 00C765B3
	v_nop                                                      // 000000006918: 7E000000
	v_mfma_f32_32x32x8_bf16 v[116:131], a[184:185], v[84:85], v[116:131]// 00000000691C: D3E00074 0DD2A9B8
	s_waitcnt lgkmcnt(0)                                       // 000000006924: BF8CC07F
	v_max_f32_e32 v49, v48, v49                                // 000000006928: 16626330
	v_sub_f32_e32 v44, v52, v49                                // 00000000692C: 04586334
	v_mov_b32_e32 v52, v49                                     // 000000006930: 7E680331
	v_mul_f32_e32 v51, s56, v49                                // 000000006934: 0A666238
	v_mul_f32_e32 v44, s56, v44                                // 000000006938: 0A585838
	v_mfma_f32_32x32x8_bf16 v[116:131], a[186:187], v[86:87], v[116:131]// 00000000693C: D3E00074 0DD2ADBA
	buffer_load_dword v166, v30, s[16:19], s35 offen           // 000000006944: E0501000 2304A61E
	v_exp_f32_e32 v44, v44                                     // 00000000694C: 7E58412C
	v_fma_f32 v68, v68, s56, -v51                              // 000000006950: D1CB0044 84CC7144
	v_fma_f32 v69, v69, s56, -v51                              // 000000006958: D1CB0045 84CC7145
	v_mfma_f32_32x32x8_bf16 v[116:131], a[188:189], v[88:89], v[116:131]// 000000006960: D3E00074 0DD2B1BC
	v_fma_f32 v70, v70, s56, -v51                              // 000000006968: D1CB0046 84CC7146
	v_fma_f32 v71, v71, s56, -v51                              // 000000006970: D1CB0047 84CC7147
	v_fma_f32 v72, v72, s56, -v51                              // 000000006978: D1CB0048 84CC7148
	v_fma_f32 v73, v73, s56, -v51                              // 000000006980: D1CB0049 84CC7149
	v_fma_f32 v74, v74, s56, -v51                              // 000000006988: D1CB004A 84CC714A
	v_fma_f32 v75, v75, s56, -v51                              // 000000006990: D1CB004B 84CC714B
	v_fma_f32 v76, v76, s56, -v51                              // 000000006998: D1CB004C 84CC714C
	v_mfma_f32_32x32x8_bf16 v[116:131], a[190:191], v[90:91], v[116:131]// 0000000069A0: D3E00074 0DD2B5BE
	buffer_load_dword v167, v31, s[16:19], s35 offen           // 0000000069A8: E0501000 2304A71F
	ds_read_b128 a[144:147], v37 offset:26112                  // 0000000069B0: DBFE6600 90000025
	ds_read_b128 a[148:151], v37 offset:28160                  // 0000000069B8: DBFE6E00 94000025
	ds_read_b128 a[152:155], v37 offset:26368                  // 0000000069C0: DBFE6700 98000025
	ds_read_b128 a[156:159], v37 offset:28416                  // 0000000069C8: DBFE6F00 9C000025
	v_mfma_f32_32x32x8_bf16 v[132:147], a[192:193], v[84:85], v[132:147]// 0000000069D0: D3E00084 0E12A9C0
	v_fma_f32 v77, v77, s56, -v51                              // 0000000069D8: D1CB004D 84CC714D
	v_fma_f32 v78, v78, s56, -v51                              // 0000000069E0: D1CB004E 84CC714E
	v_fma_f32 v79, v79, s56, -v51                              // 0000000069E8: D1CB004F 84CC714F
	v_fma_f32 v80, v80, s56, -v51                              // 0000000069F0: D1CB0050 84CC7150
	v_fma_f32 v81, v81, s56, -v51                              // 0000000069F8: D1CB0051 84CC7151
	v_fma_f32 v82, v82, s56, -v51                              // 000000006A00: D1CB0052 84CC7152
	v_fma_f32 v83, v83, s56, -v51                              // 000000006A08: D1CB0053 84CC7153
	v_mfma_f32_32x32x8_bf16 v[132:147], a[194:195], v[86:87], v[132:147]// 000000006A10: D3E00084 0E12ADC2
	buffer_load_dword v168, v32, s[16:19], s35 offen           // 000000006A18: E0501000 2304A820
	v_exp_f32_e32 v68, v68                                     // 000000006A20: 7E884144
	v_exp_f32_e32 v69, v69                                     // 000000006A24: 7E8A4145
	v_mfma_f32_32x32x8_bf16 v[132:147], a[196:197], v[88:89], v[132:147]// 000000006A28: D3E00084 0E12B1C4
	v_exp_f32_e32 v70, v70                                     // 000000006A30: 7E8C4146
	v_exp_f32_e32 v71, v71                                     // 000000006A34: 7E8E4147
	v_mfma_f32_32x32x8_bf16 v[132:147], a[198:199], v[90:91], v[132:147]// 000000006A38: D3E00084 0E12B5C6
	buffer_load_dword v169, v33, s[16:19], s35 offen           // 000000006A40: E0501000 2304A921
	ds_read_b128 a[160:163], v37 offset:26624                  // 000000006A48: DBFE6800 A0000025
	ds_read_b128 a[164:167], v37 offset:28672                  // 000000006A50: DBFE7000 A4000025
	ds_read_b128 a[168:171], v37 offset:26880                  // 000000006A58: DBFE6900 A8000025
	ds_read_b128 a[172:175], v37 offset:28928                  // 000000006A60: DBFE7100 AC000025
	v_mfma_f32_32x32x8_bf16 v[148:163], a[200:201], v[84:85], v[148:163]// 000000006A68: D3E00094 0E52A9C8
	v_exp_f32_e32 v72, v72                                     // 000000006A70: 7E904148
	v_exp_f32_e32 v73, v73                                     // 000000006A74: 7E924149
	v_mfma_f32_32x32x8_bf16 v[148:163], a[202:203], v[86:87], v[148:163]// 000000006A78: D3E00094 0E52ADCA
	buffer_load_dword v170, v34, s[16:19], s35 offen           // 000000006A80: E0501000 2304AA22
	v_exp_f32_e32 v74, v74                                     // 000000006A88: 7E94414A
	v_exp_f32_e32 v75, v75                                     // 000000006A8C: 7E96414B
	v_mfma_f32_32x32x8_bf16 v[148:163], a[204:205], v[88:89], v[148:163]// 000000006A90: D3E00094 0E52B1CC
	v_exp_f32_e32 v76, v76                                     // 000000006A98: 7E98414C
	v_exp_f32_e32 v77, v77                                     // 000000006A9C: 7E9A414D
	v_mfma_f32_32x32x8_bf16 v[148:163], a[206:207], v[90:91], v[148:163]// 000000006AA0: D3E00094 0E52B5CE
	buffer_load_dword v171, v35, s[16:19], s35 offen           // 000000006AA8: E0501000 2304AB23
	v_exp_f32_e32 v78, v78                                     // 000000006AB0: 7E9C414E
	s_add_i32 s35, s44, s35                                    // 000000006AB4: 8123232C
	s_add_i32 s52, s52, s53                                    // 000000006AB8: 81343534
	s_addk_i32 s39, 0x20                                       // 000000006ABC: B7270020
	s_cmp_lt_i32 s39, s38                                      // 000000006AC0: BF042627
	v_mov_b32_e32 v45, v44                                     // 000000006AC4: 7E5A032C
	v_mul_f32_e32 v128, v44, v128                              // 000000006AC8: 0B01012C
	v_mul_f32_e32 v129, v44, v129                              // 000000006ACC: 0B03032C
	v_pk_mul_f32 v[130:131], v[44:45], v[130:131]              // 000000006AD0: D3B14082 1803052C
	v_pk_mul_f32 v[132:133], v[44:45], v[132:133]              // 000000006AD8: D3B14084 1803092C
	v_pk_mul_f32 v[134:135], v[44:45], v[134:135]              // 000000006AE0: D3B14086 18030D2C
	v_pk_mul_f32 v[136:137], v[44:45], v[136:137]              // 000000006AE8: D3B14088 1803112C
	v_pk_mul_f32 v[138:139], v[44:45], v[138:139]              // 000000006AF0: D3B1408A 1803152C
	v_pk_mul_f32 v[140:141], v[44:45], v[140:141]              // 000000006AF8: D3B1408C 1803192C
	v_pk_mul_f32 v[142:143], v[44:45], v[142:143]              // 000000006B00: D3B1408E 18031D2C
	v_pk_mul_f32 v[144:145], v[44:45], v[144:145]              // 000000006B08: D3B14090 1803212C
	v_pk_mul_f32 v[146:147], v[44:45], v[146:147]              // 000000006B10: D3B14092 1803252C
	v_pk_mul_f32 v[148:149], v[44:45], v[148:149]              // 000000006B18: D3B14094 1803292C
	v_pk_mul_f32 v[150:151], v[44:45], v[150:151]              // 000000006B20: D3B14096 18032D2C
	v_pk_mul_f32 v[152:153], v[44:45], v[152:153]              // 000000006B28: D3B14098 1803312C
	v_pk_mul_f32 v[154:155], v[44:45], v[154:155]              // 000000006B30: D3B1409A 1803352C
	v_pk_mul_f32 v[156:157], v[44:45], v[156:157]              // 000000006B38: D3B1409C 1803392C
	v_pk_mul_f32 v[158:159], v[44:45], v[158:159]              // 000000006B40: D3B1409E 18033D2C
	v_pk_mul_f32 v[160:161], v[44:45], v[160:161]              // 000000006B48: D3B140A0 1803412C
	v_pk_mul_f32 v[162:163], v[44:45], v[162:163]              // 000000006B50: D3B140A2 1803452C
	s_cbranch_scc0 label_0E18                                  // 000000006B58: BF840001
	s_branch label_0977                                        // 000000006B5C: BF82FB5F

0000000000006b60 <label_0E18>:
	s_add_u32 s40, s38, 31                                     // 000000006B60: 80289F26
	s_lshr_b32 s40, s40, 5                                     // 000000006B64: 8F288528
	s_and_b32 s40, 1, s40                                      // 000000006B68: 86282881
	s_cmp_lt_i32 s40, 1                                        // 000000006B6C: BF048128
	s_cbranch_scc0 label_0F0B                                  // 000000006B70: BF8400EE
	s_nop 0                                                    // 000000006B74: BF800000
	v_exp_f32_e32 v95, v95                                     // 000000006B78: 7EBE415F
	v_exp_f32_e32 v96, v96                                     // 000000006B7C: 7EC04160
	v_exp_f32_e32 v97, v97                                     // 000000006B80: 7EC24161
	v_exp_f32_e32 v98, v98                                     // 000000006B84: 7EC44162
	v_exp_f32_e32 v99, v99                                     // 000000006B88: 7EC64163
	v_mul_f32_e32 v46, v44, v46                                // 000000006B8C: 0A5C5D2C
	v_add_f32_e32 v62, v85, v84                                // 000000006B90: 027CA955
	v_add_f32_e32 v62, v86, v62                                // 000000006B94: 027C7D56
	v_add_f32_e32 v62, v87, v62                                // 000000006B98: 027C7D57
	v_add_f32_e32 v62, v88, v62                                // 000000006B9C: 027C7D58
	v_add_f32_e32 v62, v89, v62                                // 000000006BA0: 027C7D59
	v_add_f32_e32 v62, v90, v62                                // 000000006BA4: 027C7D5A
	v_add_f32_e32 v62, v91, v62                                // 000000006BA8: 027C7D5B
	v_add_f32_e32 v62, v92, v62                                // 000000006BAC: 027C7D5C
	v_add_f32_e32 v62, v93, v62                                // 000000006BB0: 027C7D5D
	v_add_f32_e32 v62, v94, v62                                // 000000006BB4: 027C7D5E
	v_add_f32_e32 v62, v95, v62                                // 000000006BB8: 027C7D5F
	v_add_f32_e32 v62, v96, v62                                // 000000006BBC: 027C7D60
	v_add_f32_e32 v62, v97, v62                                // 000000006BC0: 027C7D61
	v_add_f32_e32 v62, v98, v62                                // 000000006BC4: 027C7D62
	v_add_f32_e32 v62, v99, v62                                // 000000006BC8: 027C7D63
	v_add_f32_e32 v46, v62, v46                                // 000000006BCC: 025C5D3E
	v_mul_f32_e32 v100, v44, v100                              // 000000006BD0: 0AC8C92C
	v_mul_f32_e32 v101, v44, v101                              // 000000006BD4: 0ACACB2C
	v_mul_f32_e32 v102, v44, v102                              // 000000006BD8: 0ACCCD2C
	v_mul_f32_e32 v103, v44, v103                              // 000000006BDC: 0ACECF2C
	v_mul_f32_e32 v104, v44, v104                              // 000000006BE0: 0AD0D12C
	v_mul_f32_e32 v105, v44, v105                              // 000000006BE4: 0AD2D32C
	v_mul_f32_e32 v106, v44, v106                              // 000000006BE8: 0AD4D52C
	v_mul_f32_e32 v107, v44, v107                              // 000000006BEC: 0AD6D72C
	v_mul_f32_e32 v108, v44, v108                              // 000000006BF0: 0AD8D92C
	v_mul_f32_e32 v109, v44, v109                              // 000000006BF4: 0ADADB2C
	v_mul_f32_e32 v110, v44, v110                              // 000000006BF8: 0ADCDD2C
	v_mul_f32_e32 v111, v44, v111                              // 000000006BFC: 0ADEDF2C
	v_mul_f32_e32 v112, v44, v112                              // 000000006C00: 0AE0E12C
	v_mul_f32_e32 v113, v44, v113                              // 000000006C04: 0AE2E32C
	v_mul_f32_e32 v114, v44, v114                              // 000000006C08: 0AE4E52C
	v_mul_f32_e32 v115, v44, v115                              // 000000006C0C: 0AE6E72C
	v_mul_f32_e32 v116, v44, v116                              // 000000006C10: 0AE8E92C
	v_mul_f32_e32 v117, v44, v117                              // 000000006C14: 0AEAEB2C
	v_mul_f32_e32 v118, v44, v118                              // 000000006C18: 0AECED2C
	v_mul_f32_e32 v119, v44, v119                              // 000000006C1C: 0AEEEF2C
	v_mul_f32_e32 v120, v44, v120                              // 000000006C20: 0AF0F12C
	v_mul_f32_e32 v121, v44, v121                              // 000000006C24: 0AF2F32C
	v_mul_f32_e32 v122, v44, v122                              // 000000006C28: 0AF4F52C
	v_mul_f32_e32 v123, v44, v123                              // 000000006C2C: 0AF6F72C
	v_mul_f32_e32 v124, v44, v124                              // 000000006C30: 0AF8F92C
	v_mul_f32_e32 v125, v44, v125                              // 000000006C34: 0AFAFB2C
	v_mul_f32_e32 v126, v44, v126                              // 000000006C38: 0AFCFD2C
	v_mul_f32_e32 v127, v44, v127                              // 000000006C3C: 0AFEFF2C
	v_cmp_u_f32_e64 s[70:71], v84, v84                         // 000000006C40: D0480046 0002A954
	v_bfe_u32 v64, v84, 16, 1                                  // 000000006C48: D1C80040 02052154
	v_add3_u32 v64, v84, v64, v67                              // 000000006C50: D1FF0040 050E8154
	v_cndmask_b32_e64 v40, v64, v66, s[70:71]                  // 000000006C58: D1000028 011A8540
	v_lshrrev_b32_e32 v40, 16, v40                             // 000000006C60: 20505090
	v_cmp_u_f32_e64 s[70:71], v85, v85                         // 000000006C64: D0480046 0002AB55
	v_bfe_u32 v64, v85, 16, 1                                  // 000000006C6C: D1C80040 02052155
	v_add3_u32 v64, v85, v64, v67                              // 000000006C74: D1FF0040 050E8155
	v_cndmask_b32_e64 v41, v64, v66, s[70:71]                  // 000000006C7C: D1000029 011A8540
	v_and_or_b32 v84, v41, v65, v40                            // 000000006C84: D2010054 04A28329
	v_cmp_u_f32_e64 s[70:71], v86, v86                         // 000000006C8C: D0480046 0002AD56
	v_bfe_u32 v64, v86, 16, 1                                  // 000000006C94: D1C80040 02052156
	v_add3_u32 v64, v86, v64, v67                              // 000000006C9C: D1FF0040 050E8156
	v_cndmask_b32_e64 v40, v64, v66, s[70:71]                  // 000000006CA4: D1000028 011A8540
	v_lshrrev_b32_e32 v40, 16, v40                             // 000000006CAC: 20505090
	v_cmp_u_f32_e64 s[70:71], v87, v87                         // 000000006CB0: D0480046 0002AF57
	v_bfe_u32 v64, v87, 16, 1                                  // 000000006CB8: D1C80040 02052157
	v_add3_u32 v64, v87, v64, v67                              // 000000006CC0: D1FF0040 050E8157
	v_cndmask_b32_e64 v41, v64, v66, s[70:71]                  // 000000006CC8: D1000029 011A8540
	v_and_or_b32 v85, v41, v65, v40                            // 000000006CD0: D2010055 04A28329
	v_cmp_u_f32_e64 s[70:71], v88, v88                         // 000000006CD8: D0480046 0002B158
	v_bfe_u32 v64, v88, 16, 1                                  // 000000006CE0: D1C80040 02052158
	v_add3_u32 v64, v88, v64, v67                              // 000000006CE8: D1FF0040 050E8158
	v_cndmask_b32_e64 v40, v64, v66, s[70:71]                  // 000000006CF0: D1000028 011A8540
	v_lshrrev_b32_e32 v40, 16, v40                             // 000000006CF8: 20505090
	v_cmp_u_f32_e64 s[70:71], v89, v89                         // 000000006CFC: D0480046 0002B359
	v_bfe_u32 v64, v89, 16, 1                                  // 000000006D04: D1C80040 02052159
	v_add3_u32 v64, v89, v64, v67                              // 000000006D0C: D1FF0040 050E8159
	v_cndmask_b32_e64 v41, v64, v66, s[70:71]                  // 000000006D14: D1000029 011A8540
	v_and_or_b32 v86, v41, v65, v40                            // 000000006D1C: D2010056 04A28329
	v_cmp_u_f32_e64 s[70:71], v90, v90                         // 000000006D24: D0480046 0002B55A
	v_bfe_u32 v64, v90, 16, 1                                  // 000000006D2C: D1C80040 0205215A
	v_add3_u32 v64, v90, v64, v67                              // 000000006D34: D1FF0040 050E815A
	v_cndmask_b32_e64 v40, v64, v66, s[70:71]                  // 000000006D3C: D1000028 011A8540
	v_lshrrev_b32_e32 v40, 16, v40                             // 000000006D44: 20505090
	v_cmp_u_f32_e64 s[70:71], v91, v91                         // 000000006D48: D0480046 0002B75B
	v_bfe_u32 v64, v91, 16, 1                                  // 000000006D50: D1C80040 0205215B
	v_add3_u32 v64, v91, v64, v67                              // 000000006D58: D1FF0040 050E815B
	v_cndmask_b32_e64 v41, v64, v66, s[70:71]                  // 000000006D60: D1000029 011A8540
	v_and_or_b32 v87, v41, v65, v40                            // 000000006D68: D2010057 04A28329
	v_cmp_u_f32_e64 s[70:71], v92, v92                         // 000000006D70: D0480046 0002B95C
	v_bfe_u32 v64, v92, 16, 1                                  // 000000006D78: D1C80040 0205215C
	v_add3_u32 v64, v92, v64, v67                              // 000000006D80: D1FF0040 050E815C
	v_cndmask_b32_e64 v40, v64, v66, s[70:71]                  // 000000006D88: D1000028 011A8540
	v_lshrrev_b32_e32 v40, 16, v40                             // 000000006D90: 20505090
	v_cmp_u_f32_e64 s[70:71], v93, v93                         // 000000006D94: D0480046 0002BB5D
	v_bfe_u32 v64, v93, 16, 1                                  // 000000006D9C: D1C80040 0205215D
	v_add3_u32 v64, v93, v64, v67                              // 000000006DA4: D1FF0040 050E815D
	v_cndmask_b32_e64 v41, v64, v66, s[70:71]                  // 000000006DAC: D1000029 011A8540
	v_and_or_b32 v88, v41, v65, v40                            // 000000006DB4: D2010058 04A28329
	v_cmp_u_f32_e64 s[70:71], v94, v94                         // 000000006DBC: D0480046 0002BD5E
	v_bfe_u32 v64, v94, 16, 1                                  // 000000006DC4: D1C80040 0205215E
	v_add3_u32 v64, v94, v64, v67                              // 000000006DCC: D1FF0040 050E815E
	v_cndmask_b32_e64 v40, v64, v66, s[70:71]                  // 000000006DD4: D1000028 011A8540
	v_lshrrev_b32_e32 v40, 16, v40                             // 000000006DDC: 20505090
	v_cmp_u_f32_e64 s[70:71], v95, v95                         // 000000006DE0: D0480046 0002BF5F
	v_bfe_u32 v64, v95, 16, 1                                  // 000000006DE8: D1C80040 0205215F
	v_add3_u32 v64, v95, v64, v67                              // 000000006DF0: D1FF0040 050E815F
	v_cndmask_b32_e64 v41, v64, v66, s[70:71]                  // 000000006DF8: D1000029 011A8540
	v_and_or_b32 v89, v41, v65, v40                            // 000000006E00: D2010059 04A28329
	v_cmp_u_f32_e64 s[70:71], v96, v96                         // 000000006E08: D0480046 0002C160
	v_bfe_u32 v64, v96, 16, 1                                  // 000000006E10: D1C80040 02052160
	v_add3_u32 v64, v96, v64, v67                              // 000000006E18: D1FF0040 050E8160
	v_cndmask_b32_e64 v40, v64, v66, s[70:71]                  // 000000006E20: D1000028 011A8540
	v_lshrrev_b32_e32 v40, 16, v40                             // 000000006E28: 20505090
	v_cmp_u_f32_e64 s[70:71], v97, v97                         // 000000006E2C: D0480046 0002C361
	v_bfe_u32 v64, v97, 16, 1                                  // 000000006E34: D1C80040 02052161
	v_add3_u32 v64, v97, v64, v67                              // 000000006E3C: D1FF0040 050E8161
	v_cndmask_b32_e64 v41, v64, v66, s[70:71]                  // 000000006E44: D1000029 011A8540
	v_and_or_b32 v90, v41, v65, v40                            // 000000006E4C: D201005A 04A28329
	v_cmp_u_f32_e64 s[70:71], v98, v98                         // 000000006E54: D0480046 0002C562
	v_bfe_u32 v64, v98, 16, 1                                  // 000000006E5C: D1C80040 02052162
	v_add3_u32 v64, v98, v64, v67                              // 000000006E64: D1FF0040 050E8162
	v_cndmask_b32_e64 v40, v64, v66, s[70:71]                  // 000000006E6C: D1000028 011A8540
	v_lshrrev_b32_e32 v40, 16, v40                             // 000000006E74: 20505090
	v_cmp_u_f32_e64 s[70:71], v99, v99                         // 000000006E78: D0480046 0002C763
	v_bfe_u32 v64, v99, 16, 1                                  // 000000006E80: D1C80040 02052163
	v_add3_u32 v64, v99, v64, v67                              // 000000006E88: D1FF0040 050E8163
	v_cndmask_b32_e64 v41, v64, v66, s[70:71]                  // 000000006E90: D1000029 011A8540
	v_and_or_b32 v91, v41, v65, v40                            // 000000006E98: D201005B 04A28329
	s_waitcnt lgkmcnt(0)                                       // 000000006EA0: BF8CC07F
	s_nop 0                                                    // 000000006EA4: BF800000
	v_mfma_f32_32x32x8_bf16 v[100:115], a[176:177], v[84:85], v[100:115]// 000000006EA8: D3E00064 0D92A9B0
	v_mfma_f32_32x32x8_bf16 v[100:115], a[178:179], v[86:87], v[100:115]// 000000006EB0: D3E00064 0D92ADB2
	v_mfma_f32_32x32x8_bf16 v[100:115], a[180:181], v[88:89], v[100:115]// 000000006EB8: D3E00064 0D92B1B4
	v_mfma_f32_32x32x8_bf16 v[100:115], a[182:183], v[90:91], v[100:115]// 000000006EC0: D3E00064 0D92B5B6
	v_mfma_f32_32x32x8_bf16 v[116:131], a[184:185], v[84:85], v[116:131]// 000000006EC8: D3E00074 0DD2A9B8
	v_mfma_f32_32x32x8_bf16 v[116:131], a[186:187], v[86:87], v[116:131]// 000000006ED0: D3E00074 0DD2ADBA
	v_mfma_f32_32x32x8_bf16 v[116:131], a[188:189], v[88:89], v[116:131]// 000000006ED8: D3E00074 0DD2B1BC
	v_mfma_f32_32x32x8_bf16 v[116:131], a[190:191], v[90:91], v[116:131]// 000000006EE0: D3E00074 0DD2B5BE
	v_mfma_f32_32x32x8_bf16 v[132:147], a[192:193], v[84:85], v[132:147]// 000000006EE8: D3E00084 0E12A9C0
	v_mfma_f32_32x32x8_bf16 v[132:147], a[194:195], v[86:87], v[132:147]// 000000006EF0: D3E00084 0E12ADC2
	v_mfma_f32_32x32x8_bf16 v[132:147], a[196:197], v[88:89], v[132:147]// 000000006EF8: D3E00084 0E12B1C4
	v_mfma_f32_32x32x8_bf16 v[132:147], a[198:199], v[90:91], v[132:147]// 000000006F00: D3E00084 0E12B5C6
	v_mfma_f32_32x32x8_bf16 v[148:163], a[200:201], v[84:85], v[148:163]// 000000006F08: D3E00094 0E52A9C8
	v_mfma_f32_32x32x8_bf16 v[148:163], a[202:203], v[86:87], v[148:163]// 000000006F10: D3E00094 0E52ADCA
	v_mfma_f32_32x32x8_bf16 v[148:163], a[204:205], v[88:89], v[148:163]// 000000006F18: D3E00094 0E52B1CC
	v_mfma_f32_32x32x8_bf16 v[148:163], a[206:207], v[90:91], v[148:163]// 000000006F20: D3E00094 0E52B5CE
	s_branch label_0FF8                                        // 000000006F28: BF8200ED

0000000000006f2c <label_0F0B>:
	s_nop 0                                                    // 000000006F2C: BF800000
	v_exp_f32_e32 v79, v79                                     // 000000006F30: 7E9E414F
	v_exp_f32_e32 v80, v80                                     // 000000006F34: 7EA04150
	v_exp_f32_e32 v81, v81                                     // 000000006F38: 7EA24151
	v_exp_f32_e32 v82, v82                                     // 000000006F3C: 7EA44152
	v_exp_f32_e32 v83, v83                                     // 000000006F40: 7EA64153
	v_mul_f32_e32 v46, v44, v46                                // 000000006F44: 0A5C5D2C
	v_add_f32_e32 v62, v69, v68                                // 000000006F48: 027C8945
	v_add_f32_e32 v62, v70, v62                                // 000000006F4C: 027C7D46
	v_add_f32_e32 v62, v71, v62                                // 000000006F50: 027C7D47
	v_add_f32_e32 v62, v72, v62                                // 000000006F54: 027C7D48
	v_add_f32_e32 v62, v73, v62                                // 000000006F58: 027C7D49
	v_add_f32_e32 v62, v74, v62                                // 000000006F5C: 027C7D4A
	v_add_f32_e32 v62, v75, v62                                // 000000006F60: 027C7D4B
	v_add_f32_e32 v62, v76, v62                                // 000000006F64: 027C7D4C
	v_add_f32_e32 v62, v77, v62                                // 000000006F68: 027C7D4D
	v_add_f32_e32 v62, v78, v62                                // 000000006F6C: 027C7D4E
	v_add_f32_e32 v62, v79, v62                                // 000000006F70: 027C7D4F
	v_add_f32_e32 v62, v80, v62                                // 000000006F74: 027C7D50
	v_add_f32_e32 v62, v81, v62                                // 000000006F78: 027C7D51
	v_add_f32_e32 v62, v82, v62                                // 000000006F7C: 027C7D52
	v_add_f32_e32 v62, v83, v62                                // 000000006F80: 027C7D53
	v_add_f32_e32 v46, v62, v46                                // 000000006F84: 025C5D3E
	v_mul_f32_e32 v100, v44, v100                              // 000000006F88: 0AC8C92C
	v_mul_f32_e32 v101, v44, v101                              // 000000006F8C: 0ACACB2C
	v_mul_f32_e32 v102, v44, v102                              // 000000006F90: 0ACCCD2C
	v_mul_f32_e32 v103, v44, v103                              // 000000006F94: 0ACECF2C
	v_mul_f32_e32 v104, v44, v104                              // 000000006F98: 0AD0D12C
	v_mul_f32_e32 v105, v44, v105                              // 000000006F9C: 0AD2D32C
	v_mul_f32_e32 v106, v44, v106                              // 000000006FA0: 0AD4D52C
	v_mul_f32_e32 v107, v44, v107                              // 000000006FA4: 0AD6D72C
	v_mul_f32_e32 v108, v44, v108                              // 000000006FA8: 0AD8D92C
	v_mul_f32_e32 v109, v44, v109                              // 000000006FAC: 0ADADB2C
	v_mul_f32_e32 v110, v44, v110                              // 000000006FB0: 0ADCDD2C
	v_mul_f32_e32 v111, v44, v111                              // 000000006FB4: 0ADEDF2C
	v_mul_f32_e32 v112, v44, v112                              // 000000006FB8: 0AE0E12C
	v_mul_f32_e32 v113, v44, v113                              // 000000006FBC: 0AE2E32C
	v_mul_f32_e32 v114, v44, v114                              // 000000006FC0: 0AE4E52C
	v_mul_f32_e32 v115, v44, v115                              // 000000006FC4: 0AE6E72C
	v_mul_f32_e32 v116, v44, v116                              // 000000006FC8: 0AE8E92C
	v_mul_f32_e32 v117, v44, v117                              // 000000006FCC: 0AEAEB2C
	v_mul_f32_e32 v118, v44, v118                              // 000000006FD0: 0AECED2C
	v_mul_f32_e32 v119, v44, v119                              // 000000006FD4: 0AEEEF2C
	v_mul_f32_e32 v120, v44, v120                              // 000000006FD8: 0AF0F12C
	v_mul_f32_e32 v121, v44, v121                              // 000000006FDC: 0AF2F32C
	v_mul_f32_e32 v122, v44, v122                              // 000000006FE0: 0AF4F52C
	v_mul_f32_e32 v123, v44, v123                              // 000000006FE4: 0AF6F72C
	v_mul_f32_e32 v124, v44, v124                              // 000000006FE8: 0AF8F92C
	v_mul_f32_e32 v125, v44, v125                              // 000000006FEC: 0AFAFB2C
	v_mul_f32_e32 v126, v44, v126                              // 000000006FF0: 0AFCFD2C
	v_mul_f32_e32 v127, v44, v127                              // 000000006FF4: 0AFEFF2C
	v_cmp_u_f32_e64 s[70:71], v68, v68                         // 000000006FF8: D0480046 00028944
	v_bfe_u32 v64, v68, 16, 1                                  // 000000007000: D1C80040 02052144
	v_add3_u32 v64, v68, v64, v67                              // 000000007008: D1FF0040 050E8144
	v_cndmask_b32_e64 v40, v64, v66, s[70:71]                  // 000000007010: D1000028 011A8540
	v_lshrrev_b32_e32 v40, 16, v40                             // 000000007018: 20505090
	v_cmp_u_f32_e64 s[70:71], v69, v69                         // 00000000701C: D0480046 00028B45
	v_bfe_u32 v64, v69, 16, 1                                  // 000000007024: D1C80040 02052145
	v_add3_u32 v64, v69, v64, v67                              // 00000000702C: D1FF0040 050E8145
	v_cndmask_b32_e64 v41, v64, v66, s[70:71]                  // 000000007034: D1000029 011A8540
	v_and_or_b32 v68, v41, v65, v40                            // 00000000703C: D2010044 04A28329
	v_cmp_u_f32_e64 s[70:71], v70, v70                         // 000000007044: D0480046 00028D46
	v_bfe_u32 v64, v70, 16, 1                                  // 00000000704C: D1C80040 02052146
	v_add3_u32 v64, v70, v64, v67                              // 000000007054: D1FF0040 050E8146
	v_cndmask_b32_e64 v40, v64, v66, s[70:71]                  // 00000000705C: D1000028 011A8540
	v_lshrrev_b32_e32 v40, 16, v40                             // 000000007064: 20505090
	v_cmp_u_f32_e64 s[70:71], v71, v71                         // 000000007068: D0480046 00028F47
	v_bfe_u32 v64, v71, 16, 1                                  // 000000007070: D1C80040 02052147
	v_add3_u32 v64, v71, v64, v67                              // 000000007078: D1FF0040 050E8147
	v_cndmask_b32_e64 v41, v64, v66, s[70:71]                  // 000000007080: D1000029 011A8540
	v_and_or_b32 v69, v41, v65, v40                            // 000000007088: D2010045 04A28329
	v_cmp_u_f32_e64 s[70:71], v72, v72                         // 000000007090: D0480046 00029148
	v_bfe_u32 v64, v72, 16, 1                                  // 000000007098: D1C80040 02052148
	v_add3_u32 v64, v72, v64, v67                              // 0000000070A0: D1FF0040 050E8148
	v_cndmask_b32_e64 v40, v64, v66, s[70:71]                  // 0000000070A8: D1000028 011A8540
	v_lshrrev_b32_e32 v40, 16, v40                             // 0000000070B0: 20505090
	v_cmp_u_f32_e64 s[70:71], v73, v73                         // 0000000070B4: D0480046 00029349
	v_bfe_u32 v64, v73, 16, 1                                  // 0000000070BC: D1C80040 02052149
	v_add3_u32 v64, v73, v64, v67                              // 0000000070C4: D1FF0040 050E8149
	v_cndmask_b32_e64 v41, v64, v66, s[70:71]                  // 0000000070CC: D1000029 011A8540
	v_and_or_b32 v70, v41, v65, v40                            // 0000000070D4: D2010046 04A28329
	v_cmp_u_f32_e64 s[70:71], v74, v74                         // 0000000070DC: D0480046 0002954A
	v_bfe_u32 v64, v74, 16, 1                                  // 0000000070E4: D1C80040 0205214A
	v_add3_u32 v64, v74, v64, v67                              // 0000000070EC: D1FF0040 050E814A
	v_cndmask_b32_e64 v40, v64, v66, s[70:71]                  // 0000000070F4: D1000028 011A8540
	v_lshrrev_b32_e32 v40, 16, v40                             // 0000000070FC: 20505090
	v_cmp_u_f32_e64 s[70:71], v75, v75                         // 000000007100: D0480046 0002974B
	v_bfe_u32 v64, v75, 16, 1                                  // 000000007108: D1C80040 0205214B
	v_add3_u32 v64, v75, v64, v67                              // 000000007110: D1FF0040 050E814B
	v_cndmask_b32_e64 v41, v64, v66, s[70:71]                  // 000000007118: D1000029 011A8540
	v_and_or_b32 v71, v41, v65, v40                            // 000000007120: D2010047 04A28329
	v_cmp_u_f32_e64 s[70:71], v76, v76                         // 000000007128: D0480046 0002994C
	v_bfe_u32 v64, v76, 16, 1                                  // 000000007130: D1C80040 0205214C
	v_add3_u32 v64, v76, v64, v67                              // 000000007138: D1FF0040 050E814C
	v_cndmask_b32_e64 v40, v64, v66, s[70:71]                  // 000000007140: D1000028 011A8540
	v_lshrrev_b32_e32 v40, 16, v40                             // 000000007148: 20505090
	v_cmp_u_f32_e64 s[70:71], v77, v77                         // 00000000714C: D0480046 00029B4D
	v_bfe_u32 v64, v77, 16, 1                                  // 000000007154: D1C80040 0205214D
	v_add3_u32 v64, v77, v64, v67                              // 00000000715C: D1FF0040 050E814D
	v_cndmask_b32_e64 v41, v64, v66, s[70:71]                  // 000000007164: D1000029 011A8540
	v_and_or_b32 v72, v41, v65, v40                            // 00000000716C: D2010048 04A28329
	v_cmp_u_f32_e64 s[70:71], v78, v78                         // 000000007174: D0480046 00029D4E
	v_bfe_u32 v64, v78, 16, 1                                  // 00000000717C: D1C80040 0205214E
	v_add3_u32 v64, v78, v64, v67                              // 000000007184: D1FF0040 050E814E
	v_cndmask_b32_e64 v40, v64, v66, s[70:71]                  // 00000000718C: D1000028 011A8540
	v_lshrrev_b32_e32 v40, 16, v40                             // 000000007194: 20505090
	v_cmp_u_f32_e64 s[70:71], v79, v79                         // 000000007198: D0480046 00029F4F
	v_bfe_u32 v64, v79, 16, 1                                  // 0000000071A0: D1C80040 0205214F
	v_add3_u32 v64, v79, v64, v67                              // 0000000071A8: D1FF0040 050E814F
	v_cndmask_b32_e64 v41, v64, v66, s[70:71]                  // 0000000071B0: D1000029 011A8540
	v_and_or_b32 v73, v41, v65, v40                            // 0000000071B8: D2010049 04A28329
	v_cmp_u_f32_e64 s[70:71], v80, v80                         // 0000000071C0: D0480046 0002A150
	v_bfe_u32 v64, v80, 16, 1                                  // 0000000071C8: D1C80040 02052150
	v_add3_u32 v64, v80, v64, v67                              // 0000000071D0: D1FF0040 050E8150
	v_cndmask_b32_e64 v40, v64, v66, s[70:71]                  // 0000000071D8: D1000028 011A8540
	v_lshrrev_b32_e32 v40, 16, v40                             // 0000000071E0: 20505090
	v_cmp_u_f32_e64 s[70:71], v81, v81                         // 0000000071E4: D0480046 0002A351
	v_bfe_u32 v64, v81, 16, 1                                  // 0000000071EC: D1C80040 02052151
	v_add3_u32 v64, v81, v64, v67                              // 0000000071F4: D1FF0040 050E8151
	v_cndmask_b32_e64 v41, v64, v66, s[70:71]                  // 0000000071FC: D1000029 011A8540
	v_and_or_b32 v74, v41, v65, v40                            // 000000007204: D201004A 04A28329
	v_cmp_u_f32_e64 s[70:71], v82, v82                         // 00000000720C: D0480046 0002A552
	v_bfe_u32 v64, v82, 16, 1                                  // 000000007214: D1C80040 02052152
	v_add3_u32 v64, v82, v64, v67                              // 00000000721C: D1FF0040 050E8152
	v_cndmask_b32_e64 v40, v64, v66, s[70:71]                  // 000000007224: D1000028 011A8540
	v_lshrrev_b32_e32 v40, 16, v40                             // 00000000722C: 20505090
	v_cmp_u_f32_e64 s[70:71], v83, v83                         // 000000007230: D0480046 0002A753
	v_bfe_u32 v64, v83, 16, 1                                  // 000000007238: D1C80040 02052153
	v_add3_u32 v64, v83, v64, v67                              // 000000007240: D1FF0040 050E8153
	v_cndmask_b32_e64 v41, v64, v66, s[70:71]                  // 000000007248: D1000029 011A8540
	v_and_or_b32 v75, v41, v65, v40                            // 000000007250: D201004B 04A28329
	s_waitcnt lgkmcnt(0)                                       // 000000007258: BF8CC07F
	s_nop 0                                                    // 00000000725C: BF800000
	v_mfma_f32_32x32x8_bf16 v[100:115], a[144:145], v[68:69], v[100:115]// 000000007260: D3E00064 0D928990
	v_mfma_f32_32x32x8_bf16 v[100:115], a[146:147], v[70:71], v[100:115]// 000000007268: D3E00064 0D928D92
	v_mfma_f32_32x32x8_bf16 v[100:115], a[148:149], v[72:73], v[100:115]// 000000007270: D3E00064 0D929194
	v_mfma_f32_32x32x8_bf16 v[100:115], a[150:151], v[74:75], v[100:115]// 000000007278: D3E00064 0D929596
	v_mfma_f32_32x32x8_bf16 v[116:131], a[152:153], v[68:69], v[116:131]// 000000007280: D3E00074 0DD28998
	v_mfma_f32_32x32x8_bf16 v[116:131], a[154:155], v[70:71], v[116:131]// 000000007288: D3E00074 0DD28D9A
	v_mfma_f32_32x32x8_bf16 v[116:131], a[156:157], v[72:73], v[116:131]// 000000007290: D3E00074 0DD2919C
	v_mfma_f32_32x32x8_bf16 v[116:131], a[158:159], v[74:75], v[116:131]// 000000007298: D3E00074 0DD2959E
	v_mfma_f32_32x32x8_bf16 v[132:147], a[160:161], v[68:69], v[132:147]// 0000000072A0: D3E00084 0E1289A0
	v_mfma_f32_32x32x8_bf16 v[132:147], a[162:163], v[70:71], v[132:147]// 0000000072A8: D3E00084 0E128DA2
	v_mfma_f32_32x32x8_bf16 v[132:147], a[164:165], v[72:73], v[132:147]// 0000000072B0: D3E00084 0E1291A4
	v_mfma_f32_32x32x8_bf16 v[132:147], a[166:167], v[74:75], v[132:147]// 0000000072B8: D3E00084 0E1295A6
	v_mfma_f32_32x32x8_bf16 v[148:163], a[168:169], v[68:69], v[148:163]// 0000000072C0: D3E00094 0E5289A8
	v_mfma_f32_32x32x8_bf16 v[148:163], a[170:171], v[70:71], v[148:163]// 0000000072C8: D3E00094 0E528DAA
	v_mfma_f32_32x32x8_bf16 v[148:163], a[172:173], v[72:73], v[148:163]// 0000000072D0: D3E00094 0E5291AC
	v_mfma_f32_32x32x8_bf16 v[148:163], a[174:175], v[74:75], v[148:163]// 0000000072D8: D3E00094 0E5295AE

00000000000072e0 <label_0FF8>:
	v_cvt_f32_u32_e32 v40, s62                                 // 0000000072E0: 7E500C3E
	s_sub_i32 s40, 0, s62                                      // 0000000072E4: 81A83E80
	v_rcp_iflag_f32_e32 v40, v40                               // 0000000072E8: 7E504728
	s_nop 0                                                    // 0000000072EC: BF800000
	v_mul_f32_e32 v40, 0x4f7ffffe, v40                         // 0000000072F0: 0A5050FF 4F7FFFFE
	v_cvt_u32_f32_e32 v40, v40                                 // 0000000072F8: 7E500F28
	v_mul_lo_u32 v41, s40, v40                                 // 0000000072FC: D2850029 00025028
	v_mul_hi_u32 v41, v40, v41                                 // 000000007304: D2860029 00025328
	v_add_u32_e32 v40, v40, v41                                // 00000000730C: 68505328
	v_mul_hi_u32 v40, s63, v40                                 // 000000007310: D2860028 0002503F
	v_mul_lo_u32 v41, v40, s62                                 // 000000007318: D2850029 00007D28
	v_sub_u32_e32 v43, s63, v41                                // 000000007320: 6A56523F
	v_add_u32_e32 v42, 1, v40                                  // 000000007324: 68545081
	v_cmp_le_u32_e32 vcc, s62, v43                             // 000000007328: 7D96563E
	v_subrev_u32_e32 v41, s62, v43                             // 00000000732C: 6C52563E
	s_nop 0                                                    // 000000007330: BF800000
	v_cndmask_b32_e32 v40, v40, v42, vcc                       // 000000007334: 00505528
	v_cndmask_b32_e32 v43, v43, v41, vcc                       // 000000007338: 0056532B
	v_add_u32_e32 v41, 1, v40                                  // 00000000733C: 68525081
	v_cmp_le_u32_e32 vcc, s62, v43                             // 000000007340: 7D96563E
	s_nop 1                                                    // 000000007344: BF800001
	v_cndmask_b32_e32 v43, v40, v41, vcc                       // 000000007348: 00565328
	s_nop 3                                                    // 00000000734C: BF800003
	v_readfirstlane_b32 s63, v43                               // 000000007350: 7E7E052B
	s_nop 3                                                    // 000000007354: BF800003
	s_mul_i32 s63, s63, s83                                    // 000000007358: 923F533F
	v_lshrrev_b32_e32 v40, 3, v0                               // 00000000735C: 20500083
	v_mul_i32_i24_e32 v28, s83, v40                            // 000000007360: 0C385053
	v_and_b32_e32 v40, 7, v0                                   // 000000007364: 26500087
	v_mul_i32_i24_e32 v40, 16, v40                             // 000000007368: 0C505090
	v_add_u32_e32 v28, v40, v28                                // 00000000736C: 68383928
	s_mul_i32 s40, s5, s83                                     // 000000007370: 92285305
	s_mul_i32 s40, s40, 32                                     // 000000007374: 9228A028
	s_add_u32 s40, s63, s40                                    // 000000007378: 8028283F
	v_add_u32_e32 v28, s40, v28                                // 00000000737C: 68383828
	s_mul_i32 s40, s83, 8                                      // 000000007380: 92288853
	v_add_u32_e32 v29, s40, v28                                // 000000007384: 683A3828
	v_add_u32_e32 v30, s40, v29                                // 000000007388: 683C3A28
	v_add_u32_e32 v31, s40, v30                                // 00000000738C: 683E3C28
	s_mul_i32 s40, s3, 0x80                                    // 000000007390: 9228FF03 00000080
	v_and_b32_e32 v3, 31, v0                                   // 000000007398: 2606009F
	v_add_u32_e32 v3, s40, v3                                  // 00000000739C: 68060628
	s_mul_i32 s40, s5, 32                                      // 0000000073A0: 9228A005
	v_add_u32_e32 v3, s40, v3                                  // 0000000073A4: 68060628
	v_lshlrev_b32_e32 v3, 2, v3                                // 0000000073A8: 24060682
	ds_permute_b32 v40, v56, v46                               // 0000000073AC: D87C0000 28002E38
	s_waitcnt lgkmcnt(0)                                       // 0000000073B4: BF8CC07F
	v_add_f32_e32 v46, v40, v46                                // 0000000073B8: 025C5D28
	v_mul_f32_e64 v40, v52, s28                                // 0000000073BC: D1050028 00003934
	v_log_f32_e32 v41, v46                                     // 0000000073C4: 7E52432E
	v_cmp_eq_f32_e64 s[40:41], v46, 0                          // 0000000073C8: D0420028 0001012E
	s_nop 1                                                    // 0000000073D0: BF800001
	v_rcp_f32_e32 v46, v46                                     // 0000000073D4: 7E5C452E
	s_nop 1                                                    // 0000000073D8: BF800001
	v_cndmask_b32_e64 v46, v46, 0, s[40:41]                    // 0000000073DC: D100002E 00A1012E
	v_fma_f32 v2, v41, s45, v40                                // 0000000073E4: D1CB0002 04A05B29
	v_mov_b32_e32 v47, v46                                     // 0000000073EC: 7E5E032E
	v_lshrrev_b32_e32 v40, 5, v0                               // 0000000073F0: 20500085
	v_mul_i32_i24_e32 v59, 0x42, v40                           // 0000000073F4: 0C7650FF 00000042
	v_and_b32_e32 v40, 31, v0                                  // 0000000073FC: 2650009F
	v_mul_i32_i24_e32 v40, 2, v40                              // 000000007400: 0C505082
	v_add_u32_e32 v59, v40, v59                                // 000000007404: 68767728
	s_mul_i32 s40, s5, 0x420                                   // 000000007408: 9228FF05 00000420
	v_add_u32_e32 v59, s40, v59                                // 000000007410: 68767628
	v_lshlrev_b32_e32 v59, 2, v59                              // 000000007414: 24767682
	v_lshrrev_b32_e32 v40, 3, v0                               // 000000007418: 20500083
	v_mul_i32_i24_e32 v58, 2, v40                              // 00000000741C: 0C745082
	v_and_b32_e32 v40, 7, v0                                   // 000000007420: 26500087
	v_mul_i32_i24_e32 v40, 0x84, v40                           // 000000007424: 0C5050FF 00000084
	v_add_u32_e32 v58, v40, v58                                // 00000000742C: 68747528
	s_mul_i32 s40, s5, 0x420                                   // 000000007430: 9228FF05 00000420
	v_add_u32_e32 v58, s40, v58                                // 000000007438: 68747428
	v_lshlrev_b32_e32 v58, 2, v58                              // 00000000743C: 24747482
	s_waitcnt vmcnt(0) expcnt(0) lgkmcnt(0)                    // 000000007440: BF8C0000
	s_barrier                                                  // 000000007444: BF8A0000
	v_pk_mul_f32 v[100:101], v[46:47], v[100:101]              // 000000007448: D3B14064 1802C92E
	v_pk_mul_f32 v[102:103], v[46:47], v[102:103]              // 000000007450: D3B14066 1802CD2E
	v_pk_mul_f32 v[104:105], v[46:47], v[104:105]              // 000000007458: D3B14068 1802D12E
	v_pk_mul_f32 v[106:107], v[46:47], v[106:107]              // 000000007460: D3B1406A 1802D52E
	v_pk_mul_f32 v[108:109], v[46:47], v[108:109]              // 000000007468: D3B1406C 1802D92E
	v_pk_mul_f32 v[110:111], v[46:47], v[110:111]              // 000000007470: D3B1406E 1802DD2E
	v_pk_mul_f32 v[112:113], v[46:47], v[112:113]              // 000000007478: D3B14070 1802E12E
	v_pk_mul_f32 v[114:115], v[46:47], v[114:115]              // 000000007480: D3B14072 1802E52E
	v_pk_mul_f32 v[116:117], v[46:47], v[116:117]              // 000000007488: D3B14074 1802E92E
	v_pk_mul_f32 v[118:119], v[46:47], v[118:119]              // 000000007490: D3B14076 1802ED2E
	v_pk_mul_f32 v[120:121], v[46:47], v[120:121]              // 000000007498: D3B14078 1802F12E
	v_pk_mul_f32 v[122:123], v[46:47], v[122:123]              // 0000000074A0: D3B1407A 1802F52E
	v_pk_mul_f32 v[124:125], v[46:47], v[124:125]              // 0000000074A8: D3B1407C 1802F92E
	v_pk_mul_f32 v[126:127], v[46:47], v[126:127]              // 0000000074B0: D3B1407E 1802FD2E
	v_pk_mul_f32 v[128:129], v[46:47], v[128:129]              // 0000000074B8: D3B14080 1803012E
	v_pk_mul_f32 v[130:131], v[46:47], v[130:131]              // 0000000074C0: D3B14082 1803052E
	v_cmp_u_f32_e64 s[70:71], v100, v100                       // 0000000074C8: D0480046 0002C964
	v_bfe_u32 v64, v100, 16, 1                                 // 0000000074D0: D1C80040 02052164
	v_add3_u32 v64, v100, v64, v67                             // 0000000074D8: D1FF0040 050E8164
	v_cndmask_b32_e64 v40, v64, v66, s[70:71]                  // 0000000074E0: D1000028 011A8540
	v_lshrrev_b32_e32 v40, 16, v40                             // 0000000074E8: 20505090
	v_cmp_u_f32_e64 s[70:71], v101, v101                       // 0000000074EC: D0480046 0002CB65
	v_bfe_u32 v64, v101, 16, 1                                 // 0000000074F4: D1C80040 02052165
	v_add3_u32 v64, v101, v64, v67                             // 0000000074FC: D1FF0040 050E8165
	v_cndmask_b32_e64 v41, v64, v66, s[70:71]                  // 000000007504: D1000029 011A8540
	v_and_or_b32 v100, v41, v65, v40                           // 00000000750C: D2010064 04A28329
	v_cmp_u_f32_e64 s[70:71], v102, v102                       // 000000007514: D0480046 0002CD66
	v_bfe_u32 v64, v102, 16, 1                                 // 00000000751C: D1C80040 02052166
	v_add3_u32 v64, v102, v64, v67                             // 000000007524: D1FF0040 050E8166
	v_cndmask_b32_e64 v40, v64, v66, s[70:71]                  // 00000000752C: D1000028 011A8540
	v_lshrrev_b32_e32 v40, 16, v40                             // 000000007534: 20505090
	v_cmp_u_f32_e64 s[70:71], v103, v103                       // 000000007538: D0480046 0002CF67
	v_bfe_u32 v64, v103, 16, 1                                 // 000000007540: D1C80040 02052167
	v_add3_u32 v64, v103, v64, v67                             // 000000007548: D1FF0040 050E8167
	v_cndmask_b32_e64 v41, v64, v66, s[70:71]                  // 000000007550: D1000029 011A8540
	v_and_or_b32 v101, v41, v65, v40                           // 000000007558: D2010065 04A28329
	v_cmp_u_f32_e64 s[70:71], v104, v104                       // 000000007560: D0480046 0002D168
	v_bfe_u32 v64, v104, 16, 1                                 // 000000007568: D1C80040 02052168
	v_add3_u32 v64, v104, v64, v67                             // 000000007570: D1FF0040 050E8168
	v_cndmask_b32_e64 v40, v64, v66, s[70:71]                  // 000000007578: D1000028 011A8540
	v_lshrrev_b32_e32 v40, 16, v40                             // 000000007580: 20505090
	v_cmp_u_f32_e64 s[70:71], v105, v105                       // 000000007584: D0480046 0002D369
	v_bfe_u32 v64, v105, 16, 1                                 // 00000000758C: D1C80040 02052169
	v_add3_u32 v64, v105, v64, v67                             // 000000007594: D1FF0040 050E8169
	v_cndmask_b32_e64 v41, v64, v66, s[70:71]                  // 00000000759C: D1000029 011A8540
	v_and_or_b32 v102, v41, v65, v40                           // 0000000075A4: D2010066 04A28329
	v_cmp_u_f32_e64 s[70:71], v106, v106                       // 0000000075AC: D0480046 0002D56A
	v_bfe_u32 v64, v106, 16, 1                                 // 0000000075B4: D1C80040 0205216A
	v_add3_u32 v64, v106, v64, v67                             // 0000000075BC: D1FF0040 050E816A
	v_cndmask_b32_e64 v40, v64, v66, s[70:71]                  // 0000000075C4: D1000028 011A8540
	v_lshrrev_b32_e32 v40, 16, v40                             // 0000000075CC: 20505090
	v_cmp_u_f32_e64 s[70:71], v107, v107                       // 0000000075D0: D0480046 0002D76B
	v_bfe_u32 v64, v107, 16, 1                                 // 0000000075D8: D1C80040 0205216B
	v_add3_u32 v64, v107, v64, v67                             // 0000000075E0: D1FF0040 050E816B
	v_cndmask_b32_e64 v41, v64, v66, s[70:71]                  // 0000000075E8: D1000029 011A8540
	v_and_or_b32 v103, v41, v65, v40                           // 0000000075F0: D2010067 04A28329
	v_cmp_u_f32_e64 s[70:71], v108, v108                       // 0000000075F8: D0480046 0002D96C
	v_bfe_u32 v64, v108, 16, 1                                 // 000000007600: D1C80040 0205216C
	v_add3_u32 v64, v108, v64, v67                             // 000000007608: D1FF0040 050E816C
	v_cndmask_b32_e64 v40, v64, v66, s[70:71]                  // 000000007610: D1000028 011A8540
	v_lshrrev_b32_e32 v40, 16, v40                             // 000000007618: 20505090
	v_cmp_u_f32_e64 s[70:71], v109, v109                       // 00000000761C: D0480046 0002DB6D
	v_bfe_u32 v64, v109, 16, 1                                 // 000000007624: D1C80040 0205216D
	v_add3_u32 v64, v109, v64, v67                             // 00000000762C: D1FF0040 050E816D
	v_cndmask_b32_e64 v41, v64, v66, s[70:71]                  // 000000007634: D1000029 011A8540
	v_and_or_b32 v104, v41, v65, v40                           // 00000000763C: D2010068 04A28329
	v_cmp_u_f32_e64 s[70:71], v110, v110                       // 000000007644: D0480046 0002DD6E
	v_bfe_u32 v64, v110, 16, 1                                 // 00000000764C: D1C80040 0205216E
	v_add3_u32 v64, v110, v64, v67                             // 000000007654: D1FF0040 050E816E
	v_cndmask_b32_e64 v40, v64, v66, s[70:71]                  // 00000000765C: D1000028 011A8540
	v_lshrrev_b32_e32 v40, 16, v40                             // 000000007664: 20505090
	v_cmp_u_f32_e64 s[70:71], v111, v111                       // 000000007668: D0480046 0002DF6F
	v_bfe_u32 v64, v111, 16, 1                                 // 000000007670: D1C80040 0205216F
	v_add3_u32 v64, v111, v64, v67                             // 000000007678: D1FF0040 050E816F
	v_cndmask_b32_e64 v41, v64, v66, s[70:71]                  // 000000007680: D1000029 011A8540
	v_and_or_b32 v105, v41, v65, v40                           // 000000007688: D2010069 04A28329
	v_cmp_u_f32_e64 s[70:71], v112, v112                       // 000000007690: D0480046 0002E170
	v_bfe_u32 v64, v112, 16, 1                                 // 000000007698: D1C80040 02052170
	v_add3_u32 v64, v112, v64, v67                             // 0000000076A0: D1FF0040 050E8170
	v_cndmask_b32_e64 v40, v64, v66, s[70:71]                  // 0000000076A8: D1000028 011A8540
	v_lshrrev_b32_e32 v40, 16, v40                             // 0000000076B0: 20505090
	v_cmp_u_f32_e64 s[70:71], v113, v113                       // 0000000076B4: D0480046 0002E371
	v_bfe_u32 v64, v113, 16, 1                                 // 0000000076BC: D1C80040 02052171
	v_add3_u32 v64, v113, v64, v67                             // 0000000076C4: D1FF0040 050E8171
	v_cndmask_b32_e64 v41, v64, v66, s[70:71]                  // 0000000076CC: D1000029 011A8540
	v_and_or_b32 v106, v41, v65, v40                           // 0000000076D4: D201006A 04A28329
	v_cmp_u_f32_e64 s[70:71], v114, v114                       // 0000000076DC: D0480046 0002E572
	v_bfe_u32 v64, v114, 16, 1                                 // 0000000076E4: D1C80040 02052172
	v_add3_u32 v64, v114, v64, v67                             // 0000000076EC: D1FF0040 050E8172
	v_cndmask_b32_e64 v40, v64, v66, s[70:71]                  // 0000000076F4: D1000028 011A8540
	v_lshrrev_b32_e32 v40, 16, v40                             // 0000000076FC: 20505090
	v_cmp_u_f32_e64 s[70:71], v115, v115                       // 000000007700: D0480046 0002E773
	v_bfe_u32 v64, v115, 16, 1                                 // 000000007708: D1C80040 02052173
	v_add3_u32 v64, v115, v64, v67                             // 000000007710: D1FF0040 050E8173
	v_cndmask_b32_e64 v41, v64, v66, s[70:71]                  // 000000007718: D1000029 011A8540
	v_and_or_b32 v107, v41, v65, v40                           // 000000007720: D201006B 04A28329
	v_cmp_u_f32_e64 s[70:71], v116, v116                       // 000000007728: D0480046 0002E974
	v_bfe_u32 v64, v116, 16, 1                                 // 000000007730: D1C80040 02052174
	v_add3_u32 v64, v116, v64, v67                             // 000000007738: D1FF0040 050E8174
	v_cndmask_b32_e64 v40, v64, v66, s[70:71]                  // 000000007740: D1000028 011A8540
	v_lshrrev_b32_e32 v40, 16, v40                             // 000000007748: 20505090
	v_cmp_u_f32_e64 s[70:71], v117, v117                       // 00000000774C: D0480046 0002EB75
	v_bfe_u32 v64, v117, 16, 1                                 // 000000007754: D1C80040 02052175
	v_add3_u32 v64, v117, v64, v67                             // 00000000775C: D1FF0040 050E8175
	v_cndmask_b32_e64 v41, v64, v66, s[70:71]                  // 000000007764: D1000029 011A8540
	v_and_or_b32 v108, v41, v65, v40                           // 00000000776C: D201006C 04A28329
	v_cmp_u_f32_e64 s[70:71], v118, v118                       // 000000007774: D0480046 0002ED76
	v_bfe_u32 v64, v118, 16, 1                                 // 00000000777C: D1C80040 02052176
	v_add3_u32 v64, v118, v64, v67                             // 000000007784: D1FF0040 050E8176
	v_cndmask_b32_e64 v40, v64, v66, s[70:71]                  // 00000000778C: D1000028 011A8540
	v_lshrrev_b32_e32 v40, 16, v40                             // 000000007794: 20505090
	v_cmp_u_f32_e64 s[70:71], v119, v119                       // 000000007798: D0480046 0002EF77
	v_bfe_u32 v64, v119, 16, 1                                 // 0000000077A0: D1C80040 02052177
	v_add3_u32 v64, v119, v64, v67                             // 0000000077A8: D1FF0040 050E8177
	v_cndmask_b32_e64 v41, v64, v66, s[70:71]                  // 0000000077B0: D1000029 011A8540
	v_and_or_b32 v109, v41, v65, v40                           // 0000000077B8: D201006D 04A28329
	v_cmp_u_f32_e64 s[70:71], v120, v120                       // 0000000077C0: D0480046 0002F178
	v_bfe_u32 v64, v120, 16, 1                                 // 0000000077C8: D1C80040 02052178
	v_add3_u32 v64, v120, v64, v67                             // 0000000077D0: D1FF0040 050E8178
	v_cndmask_b32_e64 v40, v64, v66, s[70:71]                  // 0000000077D8: D1000028 011A8540
	v_lshrrev_b32_e32 v40, 16, v40                             // 0000000077E0: 20505090
	v_cmp_u_f32_e64 s[70:71], v121, v121                       // 0000000077E4: D0480046 0002F379
	v_bfe_u32 v64, v121, 16, 1                                 // 0000000077EC: D1C80040 02052179
	v_add3_u32 v64, v121, v64, v67                             // 0000000077F4: D1FF0040 050E8179
	v_cndmask_b32_e64 v41, v64, v66, s[70:71]                  // 0000000077FC: D1000029 011A8540
	v_and_or_b32 v110, v41, v65, v40                           // 000000007804: D201006E 04A28329
	v_cmp_u_f32_e64 s[70:71], v122, v122                       // 00000000780C: D0480046 0002F57A
	v_bfe_u32 v64, v122, 16, 1                                 // 000000007814: D1C80040 0205217A
	v_add3_u32 v64, v122, v64, v67                             // 00000000781C: D1FF0040 050E817A
	v_cndmask_b32_e64 v40, v64, v66, s[70:71]                  // 000000007824: D1000028 011A8540
	v_lshrrev_b32_e32 v40, 16, v40                             // 00000000782C: 20505090
	v_cmp_u_f32_e64 s[70:71], v123, v123                       // 000000007830: D0480046 0002F77B
	v_bfe_u32 v64, v123, 16, 1                                 // 000000007838: D1C80040 0205217B
	v_add3_u32 v64, v123, v64, v67                             // 000000007840: D1FF0040 050E817B
	v_cndmask_b32_e64 v41, v64, v66, s[70:71]                  // 000000007848: D1000029 011A8540
	v_and_or_b32 v111, v41, v65, v40                           // 000000007850: D201006F 04A28329
	v_cmp_u_f32_e64 s[70:71], v124, v124                       // 000000007858: D0480046 0002F97C
	v_bfe_u32 v64, v124, 16, 1                                 // 000000007860: D1C80040 0205217C
	v_add3_u32 v64, v124, v64, v67                             // 000000007868: D1FF0040 050E817C
	v_cndmask_b32_e64 v40, v64, v66, s[70:71]                  // 000000007870: D1000028 011A8540
	v_lshrrev_b32_e32 v40, 16, v40                             // 000000007878: 20505090
	v_cmp_u_f32_e64 s[70:71], v125, v125                       // 00000000787C: D0480046 0002FB7D
	v_bfe_u32 v64, v125, 16, 1                                 // 000000007884: D1C80040 0205217D
	v_add3_u32 v64, v125, v64, v67                             // 00000000788C: D1FF0040 050E817D
	v_cndmask_b32_e64 v41, v64, v66, s[70:71]                  // 000000007894: D1000029 011A8540
	v_and_or_b32 v112, v41, v65, v40                           // 00000000789C: D2010070 04A28329
	v_cmp_u_f32_e64 s[70:71], v126, v126                       // 0000000078A4: D0480046 0002FD7E
	v_bfe_u32 v64, v126, 16, 1                                 // 0000000078AC: D1C80040 0205217E
	v_add3_u32 v64, v126, v64, v67                             // 0000000078B4: D1FF0040 050E817E
	v_cndmask_b32_e64 v40, v64, v66, s[70:71]                  // 0000000078BC: D1000028 011A8540
	v_lshrrev_b32_e32 v40, 16, v40                             // 0000000078C4: 20505090
	v_cmp_u_f32_e64 s[70:71], v127, v127                       // 0000000078C8: D0480046 0002FF7F
	v_bfe_u32 v64, v127, 16, 1                                 // 0000000078D0: D1C80040 0205217F
	v_add3_u32 v64, v127, v64, v67                             // 0000000078D8: D1FF0040 050E817F
	v_cndmask_b32_e64 v41, v64, v66, s[70:71]                  // 0000000078E0: D1000029 011A8540
	v_and_or_b32 v113, v41, v65, v40                           // 0000000078E8: D2010071 04A28329
	v_cmp_u_f32_e64 s[70:71], v128, v128                       // 0000000078F0: D0480046 00030180
	v_bfe_u32 v64, v128, 16, 1                                 // 0000000078F8: D1C80040 02052180
	v_add3_u32 v64, v128, v64, v67                             // 000000007900: D1FF0040 050E8180
	v_cndmask_b32_e64 v40, v64, v66, s[70:71]                  // 000000007908: D1000028 011A8540
	v_lshrrev_b32_e32 v40, 16, v40                             // 000000007910: 20505090
	v_cmp_u_f32_e64 s[70:71], v129, v129                       // 000000007914: D0480046 00030381
	v_bfe_u32 v64, v129, 16, 1                                 // 00000000791C: D1C80040 02052181
	v_add3_u32 v64, v129, v64, v67                             // 000000007924: D1FF0040 050E8181
	v_cndmask_b32_e64 v41, v64, v66, s[70:71]                  // 00000000792C: D1000029 011A8540
	v_and_or_b32 v114, v41, v65, v40                           // 000000007934: D2010072 04A28329
	v_cmp_u_f32_e64 s[70:71], v130, v130                       // 00000000793C: D0480046 00030582
	v_bfe_u32 v64, v130, 16, 1                                 // 000000007944: D1C80040 02052182
	v_add3_u32 v64, v130, v64, v67                             // 00000000794C: D1FF0040 050E8182
	v_cndmask_b32_e64 v40, v64, v66, s[70:71]                  // 000000007954: D1000028 011A8540
	v_lshrrev_b32_e32 v40, 16, v40                             // 00000000795C: 20505090
	v_cmp_u_f32_e64 s[70:71], v131, v131                       // 000000007960: D0480046 00030783
	v_bfe_u32 v64, v131, 16, 1                                 // 000000007968: D1C80040 02052183
	v_add3_u32 v64, v131, v64, v67                             // 000000007970: D1FF0040 050E8183
	v_cndmask_b32_e64 v41, v64, v66, s[70:71]                  // 000000007978: D1000029 011A8540
	v_and_or_b32 v115, v41, v65, v40                           // 000000007980: D2010073 04A28329
	ds_write_b64 v59, v[100:101]                               // 000000007988: D89A0000 0000643B
	ds_write_b64 v59, v[102:103] offset:528                    // 000000007990: D89A0210 0000663B
	ds_write_b64 v59, v[104:105] offset:1056                   // 000000007998: D89A0420 0000683B
	ds_write_b64 v59, v[106:107] offset:1584                   // 0000000079A0: D89A0630 00006A3B
	ds_write_b64 v59, v[108:109] offset:2112                   // 0000000079A8: D89A0840 00006C3B
	ds_write_b64 v59, v[110:111] offset:2640                   // 0000000079B0: D89A0A50 00006E3B
	ds_write_b64 v59, v[112:113] offset:3168                   // 0000000079B8: D89A0C60 0000703B
	ds_write_b64 v59, v[114:115] offset:3696                   // 0000000079C0: D89A0E70 0000723B
	s_waitcnt vmcnt(0) expcnt(0) lgkmcnt(0)                    // 0000000079C8: BF8C0000
	ds_read_b64 v[100:101], v58                                // 0000000079CC: D8EC0000 6400003A
	ds_read_b64 v[102:103], v58 offset:264                     // 0000000079D4: D8EC0108 6600003A
	ds_read_b64 v[104:105], v58 offset:64                      // 0000000079DC: D8EC0040 6800003A
	ds_read_b64 v[106:107], v58 offset:328                     // 0000000079E4: D8EC0148 6A00003A
	ds_read_b64 v[108:109], v58 offset:128                     // 0000000079EC: D8EC0080 6C00003A
	ds_read_b64 v[110:111], v58 offset:392                     // 0000000079F4: D8EC0188 6E00003A
	ds_read_b64 v[112:113], v58 offset:192                     // 0000000079FC: D8EC00C0 7000003A
	ds_read_b64 v[114:115], v58 offset:456                     // 000000007A04: D8EC01C8 7200003A
	s_waitcnt vmcnt(0) expcnt(0) lgkmcnt(0)                    // 000000007A0C: BF8C0000
	buffer_store_dwordx4 v[100:103], v28, s[20:23], 0 offen    // 000000007A10: E07C1000 8005641C
	buffer_store_dwordx4 v[104:107], v29, s[20:23], 0 offen    // 000000007A18: E07C1000 8005681D
	buffer_store_dwordx4 v[108:111], v30, s[20:23], 0 offen    // 000000007A20: E07C1000 80056C1E
	buffer_store_dwordx4 v[112:115], v31, s[20:23], 0 offen    // 000000007A28: E07C1000 8005701F
	v_pk_mul_f32 v[132:133], v[46:47], v[132:133]              // 000000007A30: D3B14084 1803092E
	v_pk_mul_f32 v[134:135], v[46:47], v[134:135]              // 000000007A38: D3B14086 18030D2E
	v_pk_mul_f32 v[136:137], v[46:47], v[136:137]              // 000000007A40: D3B14088 1803112E
	v_pk_mul_f32 v[138:139], v[46:47], v[138:139]              // 000000007A48: D3B1408A 1803152E
	v_pk_mul_f32 v[140:141], v[46:47], v[140:141]              // 000000007A50: D3B1408C 1803192E
	v_pk_mul_f32 v[142:143], v[46:47], v[142:143]              // 000000007A58: D3B1408E 18031D2E
	v_pk_mul_f32 v[144:145], v[46:47], v[144:145]              // 000000007A60: D3B14090 1803212E
	v_pk_mul_f32 v[146:147], v[46:47], v[146:147]              // 000000007A68: D3B14092 1803252E
	v_pk_mul_f32 v[148:149], v[46:47], v[148:149]              // 000000007A70: D3B14094 1803292E
	v_pk_mul_f32 v[150:151], v[46:47], v[150:151]              // 000000007A78: D3B14096 18032D2E
	v_pk_mul_f32 v[152:153], v[46:47], v[152:153]              // 000000007A80: D3B14098 1803312E
	v_pk_mul_f32 v[154:155], v[46:47], v[154:155]              // 000000007A88: D3B1409A 1803352E
	v_pk_mul_f32 v[156:157], v[46:47], v[156:157]              // 000000007A90: D3B1409C 1803392E
	v_pk_mul_f32 v[158:159], v[46:47], v[158:159]              // 000000007A98: D3B1409E 18033D2E
	v_pk_mul_f32 v[160:161], v[46:47], v[160:161]              // 000000007AA0: D3B140A0 1803412E
	v_pk_mul_f32 v[162:163], v[46:47], v[162:163]              // 000000007AA8: D3B140A2 1803452E
	v_cmp_u_f32_e64 s[70:71], v132, v132                       // 000000007AB0: D0480046 00030984
	v_bfe_u32 v64, v132, 16, 1                                 // 000000007AB8: D1C80040 02052184
	v_add3_u32 v64, v132, v64, v67                             // 000000007AC0: D1FF0040 050E8184
	v_cndmask_b32_e64 v40, v64, v66, s[70:71]                  // 000000007AC8: D1000028 011A8540
	v_lshrrev_b32_e32 v40, 16, v40                             // 000000007AD0: 20505090
	v_cmp_u_f32_e64 s[70:71], v133, v133                       // 000000007AD4: D0480046 00030B85
	v_bfe_u32 v64, v133, 16, 1                                 // 000000007ADC: D1C80040 02052185
	v_add3_u32 v64, v133, v64, v67                             // 000000007AE4: D1FF0040 050E8185
	v_cndmask_b32_e64 v41, v64, v66, s[70:71]                  // 000000007AEC: D1000029 011A8540
	v_and_or_b32 v132, v41, v65, v40                           // 000000007AF4: D2010084 04A28329
	v_cmp_u_f32_e64 s[70:71], v134, v134                       // 000000007AFC: D0480046 00030D86
	v_bfe_u32 v64, v134, 16, 1                                 // 000000007B04: D1C80040 02052186
	v_add3_u32 v64, v134, v64, v67                             // 000000007B0C: D1FF0040 050E8186
	v_cndmask_b32_e64 v40, v64, v66, s[70:71]                  // 000000007B14: D1000028 011A8540
	v_lshrrev_b32_e32 v40, 16, v40                             // 000000007B1C: 20505090
	v_cmp_u_f32_e64 s[70:71], v135, v135                       // 000000007B20: D0480046 00030F87
	v_bfe_u32 v64, v135, 16, 1                                 // 000000007B28: D1C80040 02052187
	v_add3_u32 v64, v135, v64, v67                             // 000000007B30: D1FF0040 050E8187
	v_cndmask_b32_e64 v41, v64, v66, s[70:71]                  // 000000007B38: D1000029 011A8540
	v_and_or_b32 v133, v41, v65, v40                           // 000000007B40: D2010085 04A28329
	v_cmp_u_f32_e64 s[70:71], v136, v136                       // 000000007B48: D0480046 00031188
	v_bfe_u32 v64, v136, 16, 1                                 // 000000007B50: D1C80040 02052188
	v_add3_u32 v64, v136, v64, v67                             // 000000007B58: D1FF0040 050E8188
	v_cndmask_b32_e64 v40, v64, v66, s[70:71]                  // 000000007B60: D1000028 011A8540
	v_lshrrev_b32_e32 v40, 16, v40                             // 000000007B68: 20505090
	v_cmp_u_f32_e64 s[70:71], v137, v137                       // 000000007B6C: D0480046 00031389
	v_bfe_u32 v64, v137, 16, 1                                 // 000000007B74: D1C80040 02052189
	v_add3_u32 v64, v137, v64, v67                             // 000000007B7C: D1FF0040 050E8189
	v_cndmask_b32_e64 v41, v64, v66, s[70:71]                  // 000000007B84: D1000029 011A8540
	v_and_or_b32 v134, v41, v65, v40                           // 000000007B8C: D2010086 04A28329
	v_cmp_u_f32_e64 s[70:71], v138, v138                       // 000000007B94: D0480046 0003158A
	v_bfe_u32 v64, v138, 16, 1                                 // 000000007B9C: D1C80040 0205218A
	v_add3_u32 v64, v138, v64, v67                             // 000000007BA4: D1FF0040 050E818A
	v_cndmask_b32_e64 v40, v64, v66, s[70:71]                  // 000000007BAC: D1000028 011A8540
	v_lshrrev_b32_e32 v40, 16, v40                             // 000000007BB4: 20505090
	v_cmp_u_f32_e64 s[70:71], v139, v139                       // 000000007BB8: D0480046 0003178B
	v_bfe_u32 v64, v139, 16, 1                                 // 000000007BC0: D1C80040 0205218B
	v_add3_u32 v64, v139, v64, v67                             // 000000007BC8: D1FF0040 050E818B
	v_cndmask_b32_e64 v41, v64, v66, s[70:71]                  // 000000007BD0: D1000029 011A8540
	v_and_or_b32 v135, v41, v65, v40                           // 000000007BD8: D2010087 04A28329
	v_cmp_u_f32_e64 s[70:71], v140, v140                       // 000000007BE0: D0480046 0003198C
	v_bfe_u32 v64, v140, 16, 1                                 // 000000007BE8: D1C80040 0205218C
	v_add3_u32 v64, v140, v64, v67                             // 000000007BF0: D1FF0040 050E818C
	v_cndmask_b32_e64 v40, v64, v66, s[70:71]                  // 000000007BF8: D1000028 011A8540
	v_lshrrev_b32_e32 v40, 16, v40                             // 000000007C00: 20505090
	v_cmp_u_f32_e64 s[70:71], v141, v141                       // 000000007C04: D0480046 00031B8D
	v_bfe_u32 v64, v141, 16, 1                                 // 000000007C0C: D1C80040 0205218D
	v_add3_u32 v64, v141, v64, v67                             // 000000007C14: D1FF0040 050E818D
	v_cndmask_b32_e64 v41, v64, v66, s[70:71]                  // 000000007C1C: D1000029 011A8540
	v_and_or_b32 v136, v41, v65, v40                           // 000000007C24: D2010088 04A28329
	v_cmp_u_f32_e64 s[70:71], v142, v142                       // 000000007C2C: D0480046 00031D8E
	v_bfe_u32 v64, v142, 16, 1                                 // 000000007C34: D1C80040 0205218E
	v_add3_u32 v64, v142, v64, v67                             // 000000007C3C: D1FF0040 050E818E
	v_cndmask_b32_e64 v40, v64, v66, s[70:71]                  // 000000007C44: D1000028 011A8540
	v_lshrrev_b32_e32 v40, 16, v40                             // 000000007C4C: 20505090
	v_cmp_u_f32_e64 s[70:71], v143, v143                       // 000000007C50: D0480046 00031F8F
	v_bfe_u32 v64, v143, 16, 1                                 // 000000007C58: D1C80040 0205218F
	v_add3_u32 v64, v143, v64, v67                             // 000000007C60: D1FF0040 050E818F
	v_cndmask_b32_e64 v41, v64, v66, s[70:71]                  // 000000007C68: D1000029 011A8540
	v_and_or_b32 v137, v41, v65, v40                           // 000000007C70: D2010089 04A28329
	v_cmp_u_f32_e64 s[70:71], v144, v144                       // 000000007C78: D0480046 00032190
	v_bfe_u32 v64, v144, 16, 1                                 // 000000007C80: D1C80040 02052190
	v_add3_u32 v64, v144, v64, v67                             // 000000007C88: D1FF0040 050E8190
	v_cndmask_b32_e64 v40, v64, v66, s[70:71]                  // 000000007C90: D1000028 011A8540
	v_lshrrev_b32_e32 v40, 16, v40                             // 000000007C98: 20505090
	v_cmp_u_f32_e64 s[70:71], v145, v145                       // 000000007C9C: D0480046 00032391
	v_bfe_u32 v64, v145, 16, 1                                 // 000000007CA4: D1C80040 02052191
	v_add3_u32 v64, v145, v64, v67                             // 000000007CAC: D1FF0040 050E8191
	v_cndmask_b32_e64 v41, v64, v66, s[70:71]                  // 000000007CB4: D1000029 011A8540
	v_and_or_b32 v138, v41, v65, v40                           // 000000007CBC: D201008A 04A28329
	v_cmp_u_f32_e64 s[70:71], v146, v146                       // 000000007CC4: D0480046 00032592
	v_bfe_u32 v64, v146, 16, 1                                 // 000000007CCC: D1C80040 02052192
	v_add3_u32 v64, v146, v64, v67                             // 000000007CD4: D1FF0040 050E8192
	v_cndmask_b32_e64 v40, v64, v66, s[70:71]                  // 000000007CDC: D1000028 011A8540
	v_lshrrev_b32_e32 v40, 16, v40                             // 000000007CE4: 20505090
	v_cmp_u_f32_e64 s[70:71], v147, v147                       // 000000007CE8: D0480046 00032793
	v_bfe_u32 v64, v147, 16, 1                                 // 000000007CF0: D1C80040 02052193
	v_add3_u32 v64, v147, v64, v67                             // 000000007CF8: D1FF0040 050E8193
	v_cndmask_b32_e64 v41, v64, v66, s[70:71]                  // 000000007D00: D1000029 011A8540
	v_and_or_b32 v139, v41, v65, v40                           // 000000007D08: D201008B 04A28329
	v_cmp_u_f32_e64 s[70:71], v148, v148                       // 000000007D10: D0480046 00032994
	v_bfe_u32 v64, v148, 16, 1                                 // 000000007D18: D1C80040 02052194
	v_add3_u32 v64, v148, v64, v67                             // 000000007D20: D1FF0040 050E8194
	v_cndmask_b32_e64 v40, v64, v66, s[70:71]                  // 000000007D28: D1000028 011A8540
	v_lshrrev_b32_e32 v40, 16, v40                             // 000000007D30: 20505090
	v_cmp_u_f32_e64 s[70:71], v149, v149                       // 000000007D34: D0480046 00032B95
	v_bfe_u32 v64, v149, 16, 1                                 // 000000007D3C: D1C80040 02052195
	v_add3_u32 v64, v149, v64, v67                             // 000000007D44: D1FF0040 050E8195
	v_cndmask_b32_e64 v41, v64, v66, s[70:71]                  // 000000007D4C: D1000029 011A8540
	v_and_or_b32 v140, v41, v65, v40                           // 000000007D54: D201008C 04A28329
	v_cmp_u_f32_e64 s[70:71], v150, v150                       // 000000007D5C: D0480046 00032D96
	v_bfe_u32 v64, v150, 16, 1                                 // 000000007D64: D1C80040 02052196
	v_add3_u32 v64, v150, v64, v67                             // 000000007D6C: D1FF0040 050E8196
	v_cndmask_b32_e64 v40, v64, v66, s[70:71]                  // 000000007D74: D1000028 011A8540
	v_lshrrev_b32_e32 v40, 16, v40                             // 000000007D7C: 20505090
	v_cmp_u_f32_e64 s[70:71], v151, v151                       // 000000007D80: D0480046 00032F97
	v_bfe_u32 v64, v151, 16, 1                                 // 000000007D88: D1C80040 02052197
	v_add3_u32 v64, v151, v64, v67                             // 000000007D90: D1FF0040 050E8197
	v_cndmask_b32_e64 v41, v64, v66, s[70:71]                  // 000000007D98: D1000029 011A8540
	v_and_or_b32 v141, v41, v65, v40                           // 000000007DA0: D201008D 04A28329
	v_cmp_u_f32_e64 s[70:71], v152, v152                       // 000000007DA8: D0480046 00033198
	v_bfe_u32 v64, v152, 16, 1                                 // 000000007DB0: D1C80040 02052198
	v_add3_u32 v64, v152, v64, v67                             // 000000007DB8: D1FF0040 050E8198
	v_cndmask_b32_e64 v40, v64, v66, s[70:71]                  // 000000007DC0: D1000028 011A8540
	v_lshrrev_b32_e32 v40, 16, v40                             // 000000007DC8: 20505090
	v_cmp_u_f32_e64 s[70:71], v153, v153                       // 000000007DCC: D0480046 00033399
	v_bfe_u32 v64, v153, 16, 1                                 // 000000007DD4: D1C80040 02052199
	v_add3_u32 v64, v153, v64, v67                             // 000000007DDC: D1FF0040 050E8199
	v_cndmask_b32_e64 v41, v64, v66, s[70:71]                  // 000000007DE4: D1000029 011A8540
	v_and_or_b32 v142, v41, v65, v40                           // 000000007DEC: D201008E 04A28329
	v_cmp_u_f32_e64 s[70:71], v154, v154                       // 000000007DF4: D0480046 0003359A
	v_bfe_u32 v64, v154, 16, 1                                 // 000000007DFC: D1C80040 0205219A
	v_add3_u32 v64, v154, v64, v67                             // 000000007E04: D1FF0040 050E819A
	v_cndmask_b32_e64 v40, v64, v66, s[70:71]                  // 000000007E0C: D1000028 011A8540
	v_lshrrev_b32_e32 v40, 16, v40                             // 000000007E14: 20505090
	v_cmp_u_f32_e64 s[70:71], v155, v155                       // 000000007E18: D0480046 0003379B
	v_bfe_u32 v64, v155, 16, 1                                 // 000000007E20: D1C80040 0205219B
	v_add3_u32 v64, v155, v64, v67                             // 000000007E28: D1FF0040 050E819B
	v_cndmask_b32_e64 v41, v64, v66, s[70:71]                  // 000000007E30: D1000029 011A8540
	v_and_or_b32 v143, v41, v65, v40                           // 000000007E38: D201008F 04A28329
	v_cmp_u_f32_e64 s[70:71], v156, v156                       // 000000007E40: D0480046 0003399C
	v_bfe_u32 v64, v156, 16, 1                                 // 000000007E48: D1C80040 0205219C
	v_add3_u32 v64, v156, v64, v67                             // 000000007E50: D1FF0040 050E819C
	v_cndmask_b32_e64 v40, v64, v66, s[70:71]                  // 000000007E58: D1000028 011A8540
	v_lshrrev_b32_e32 v40, 16, v40                             // 000000007E60: 20505090
	v_cmp_u_f32_e64 s[70:71], v157, v157                       // 000000007E64: D0480046 00033B9D
	v_bfe_u32 v64, v157, 16, 1                                 // 000000007E6C: D1C80040 0205219D
	v_add3_u32 v64, v157, v64, v67                             // 000000007E74: D1FF0040 050E819D
	v_cndmask_b32_e64 v41, v64, v66, s[70:71]                  // 000000007E7C: D1000029 011A8540
	v_and_or_b32 v144, v41, v65, v40                           // 000000007E84: D2010090 04A28329
	v_cmp_u_f32_e64 s[70:71], v158, v158                       // 000000007E8C: D0480046 00033D9E
	v_bfe_u32 v64, v158, 16, 1                                 // 000000007E94: D1C80040 0205219E
	v_add3_u32 v64, v158, v64, v67                             // 000000007E9C: D1FF0040 050E819E
	v_cndmask_b32_e64 v40, v64, v66, s[70:71]                  // 000000007EA4: D1000028 011A8540
	v_lshrrev_b32_e32 v40, 16, v40                             // 000000007EAC: 20505090
	v_cmp_u_f32_e64 s[70:71], v159, v159                       // 000000007EB0: D0480046 00033F9F
	v_bfe_u32 v64, v159, 16, 1                                 // 000000007EB8: D1C80040 0205219F
	v_add3_u32 v64, v159, v64, v67                             // 000000007EC0: D1FF0040 050E819F
	v_cndmask_b32_e64 v41, v64, v66, s[70:71]                  // 000000007EC8: D1000029 011A8540
	v_and_or_b32 v145, v41, v65, v40                           // 000000007ED0: D2010091 04A28329
	v_cmp_u_f32_e64 s[70:71], v160, v160                       // 000000007ED8: D0480046 000341A0
	v_bfe_u32 v64, v160, 16, 1                                 // 000000007EE0: D1C80040 020521A0
	v_add3_u32 v64, v160, v64, v67                             // 000000007EE8: D1FF0040 050E81A0
	v_cndmask_b32_e64 v40, v64, v66, s[70:71]                  // 000000007EF0: D1000028 011A8540
	v_lshrrev_b32_e32 v40, 16, v40                             // 000000007EF8: 20505090
	v_cmp_u_f32_e64 s[70:71], v161, v161                       // 000000007EFC: D0480046 000343A1
	v_bfe_u32 v64, v161, 16, 1                                 // 000000007F04: D1C80040 020521A1
	v_add3_u32 v64, v161, v64, v67                             // 000000007F0C: D1FF0040 050E81A1
	v_cndmask_b32_e64 v41, v64, v66, s[70:71]                  // 000000007F14: D1000029 011A8540
	v_and_or_b32 v146, v41, v65, v40                           // 000000007F1C: D2010092 04A28329
	v_cmp_u_f32_e64 s[70:71], v162, v162                       // 000000007F24: D0480046 000345A2
	v_bfe_u32 v64, v162, 16, 1                                 // 000000007F2C: D1C80040 020521A2
	v_add3_u32 v64, v162, v64, v67                             // 000000007F34: D1FF0040 050E81A2
	v_cndmask_b32_e64 v40, v64, v66, s[70:71]                  // 000000007F3C: D1000028 011A8540
	v_lshrrev_b32_e32 v40, 16, v40                             // 000000007F44: 20505090
	v_cmp_u_f32_e64 s[70:71], v163, v163                       // 000000007F48: D0480046 000347A3
	v_bfe_u32 v64, v163, 16, 1                                 // 000000007F50: D1C80040 020521A3
	v_add3_u32 v64, v163, v64, v67                             // 000000007F58: D1FF0040 050E81A3
	v_cndmask_b32_e64 v41, v64, v66, s[70:71]                  // 000000007F60: D1000029 011A8540
	v_and_or_b32 v147, v41, v65, v40                           // 000000007F68: D2010093 04A28329
	ds_write_b64 v59, v[132:133]                               // 000000007F70: D89A0000 0000843B
	ds_write_b64 v59, v[134:135] offset:528                    // 000000007F78: D89A0210 0000863B
	ds_write_b64 v59, v[136:137] offset:1056                   // 000000007F80: D89A0420 0000883B
	ds_write_b64 v59, v[138:139] offset:1584                   // 000000007F88: D89A0630 00008A3B
	ds_write_b64 v59, v[140:141] offset:2112                   // 000000007F90: D89A0840 00008C3B
	ds_write_b64 v59, v[142:143] offset:2640                   // 000000007F98: D89A0A50 00008E3B
	ds_write_b64 v59, v[144:145] offset:3168                   // 000000007FA0: D89A0C60 0000903B
	ds_write_b64 v59, v[146:147] offset:3696                   // 000000007FA8: D89A0E70 0000923B
	s_waitcnt vmcnt(0) expcnt(0) lgkmcnt(0)                    // 000000007FB0: BF8C0000
	ds_read_b64 v[132:133], v58                                // 000000007FB4: D8EC0000 8400003A
	ds_read_b64 v[134:135], v58 offset:264                     // 000000007FBC: D8EC0108 8600003A
	ds_read_b64 v[136:137], v58 offset:64                      // 000000007FC4: D8EC0040 8800003A
	ds_read_b64 v[138:139], v58 offset:328                     // 000000007FCC: D8EC0148 8A00003A
	ds_read_b64 v[140:141], v58 offset:128                     // 000000007FD4: D8EC0080 8C00003A
	ds_read_b64 v[142:143], v58 offset:392                     // 000000007FDC: D8EC0188 8E00003A
	ds_read_b64 v[144:145], v58 offset:192                     // 000000007FE4: D8EC00C0 9000003A
	ds_read_b64 v[146:147], v58 offset:456                     // 000000007FEC: D8EC01C8 9200003A
	s_waitcnt vmcnt(0) expcnt(0) lgkmcnt(0)                    // 000000007FF4: BF8C0000
	buffer_store_dwordx4 v[132:135], v28, s[20:23], 0 offen offset:128// 000000007FF8: E07C1080 8005841C
	buffer_store_dwordx4 v[136:139], v29, s[20:23], 0 offen offset:128// 000000008000: E07C1080 8005881D
	buffer_store_dwordx4 v[140:143], v30, s[20:23], 0 offen offset:128// 000000008008: E07C1080 80058C1E
	buffer_store_dwordx4 v[144:147], v31, s[20:23], 0 offen offset:128// 000000008010: E07C1080 8005901F
	s_cmp_eq_u32 s37, 0                                        // 000000008018: BF068025
	s_cbranch_scc1 label_134E                                  // 00000000801C: BF850006
	v_cmp_ge_f32_e64 s[40:41], v2, v55                         // 000000008020: D0460028 00026F02
	v_cndmask_b32_e64 v2, v55, v2, s[40:41]                    // 000000008028: D1000002 00A20537
	buffer_store_dword v2, v3, s[24:27], 0 offen               // 000000008030: E0701000 80060203

0000000000008038 <label_134E>:
	s_waitcnt vmcnt(0) expcnt(0) lgkmcnt(0)                    // 000000008038: BF8C0000
	s_endpgm                                                   // 00000000803C: BF810000
